;; amdgpu-corpus repo=ROCm/rocFFT kind=compiled arch=gfx1100 opt=O3
	.text
	.amdgcn_target "amdgcn-amd-amdhsa--gfx1100"
	.amdhsa_code_object_version 6
	.protected	bluestein_single_fwd_len2400_dim1_dp_op_CI_CI ; -- Begin function bluestein_single_fwd_len2400_dim1_dp_op_CI_CI
	.globl	bluestein_single_fwd_len2400_dim1_dp_op_CI_CI
	.p2align	8
	.type	bluestein_single_fwd_len2400_dim1_dp_op_CI_CI,@function
bluestein_single_fwd_len2400_dim1_dp_op_CI_CI: ; @bluestein_single_fwd_len2400_dim1_dp_op_CI_CI
; %bb.0:
	s_load_b128 s[8:11], s[0:1], 0x28
	v_mul_u32_u24_e32 v1, 0x112, v0
	s_mov_b32 s2, exec_lo
	v_mov_b32_e32 v14, 0
	s_delay_alu instid0(VALU_DEP_2) | instskip(NEXT) | instid1(VALU_DEP_1)
	v_lshrrev_b32_e32 v1, 16, v1
	v_add_nc_u32_e32 v13, s15, v1
	s_waitcnt lgkmcnt(0)
	s_delay_alu instid0(VALU_DEP_1)
	v_cmpx_gt_u64_e64 s[8:9], v[13:14]
	s_cbranch_execz .LBB0_23
; %bb.1:
	s_clause 0x1
	s_load_b128 s[4:7], s[0:1], 0x18
	s_load_b64 s[2:3], s[0:1], 0x0
	v_mul_lo_u16 v1, 0xf0, v1
	v_mov_b32_e32 v14, v13
	s_delay_alu instid0(VALU_DEP_2)
	v_sub_nc_u16 v98, v0, v1
	s_waitcnt lgkmcnt(0)
	s_load_b128 s[12:15], s[4:5], 0x0
	s_waitcnt lgkmcnt(0)
	v_mad_u64_u32 v[24:25], null, s14, v13, 0
	s_mul_hi_u32 s5, s12, 0x258
	s_mul_hi_u32 s9, s12, 0xfffff9e8
	s_mul_i32 s8, s13, 0xfffff9e8
	s_delay_alu instid0(VALU_DEP_1) | instskip(NEXT) | instid1(VALU_DEP_1)
	v_mov_b32_e32 v12, v25
	v_mad_u64_u32 v[32:33], null, s15, v13, v[12:13]
	s_delay_alu instid0(VALU_DEP_1) | instskip(NEXT) | instid1(VALU_DEP_1)
	v_dual_mov_b32 v25, v32 :: v_dual_and_b32 v192, 0xffff, v98
	v_mad_u64_u32 v[26:27], null, s12, v192, 0
	v_lshlrev_b32_e32 v195, 4, v192
	s_delay_alu instid0(VALU_DEP_3) | instskip(NEXT) | instid1(VALU_DEP_3)
	v_lshlrev_b64 v[24:25], 4, v[24:25]
	v_mov_b32_e32 v16, v27
	s_delay_alu instid0(VALU_DEP_3) | instskip(NEXT) | instid1(VALU_DEP_1)
	v_add_co_u32 v196, s4, s2, v195
	v_add_co_ci_u32_e64 v197, null, s3, 0, s4
	s_clause 0x1
	global_load_b128 v[0:3], v195, s[2:3]
	global_load_b128 v[4:7], v195, s[2:3] offset:3840
	v_add_co_u32 v8, vcc_lo, 0x2000, v196
	v_add_co_ci_u32_e32 v9, vcc_lo, 0, v197, vcc_lo
	v_add_co_u32 v17, vcc_lo, 0x4000, v196
	v_add_co_ci_u32_e32 v18, vcc_lo, 0, v197, vcc_lo
	v_add_co_u32 v28, vcc_lo, 0x7000, v196
	s_delay_alu instid0(VALU_DEP_3) | instskip(SKIP_3) | instid1(VALU_DEP_4)
	v_mad_u64_u32 v[33:34], null, s13, v192, v[16:17]
	v_add_co_ci_u32_e32 v29, vcc_lo, 0, v197, vcc_lo
	v_add_co_u32 v10, vcc_lo, 0x3000, v196
	v_add_co_ci_u32_e32 v11, vcc_lo, 0, v197, vcc_lo
	v_mov_b32_e32 v27, v33
	v_add_co_u32 v30, vcc_lo, 0x5000, v196
	v_add_co_ci_u32_e32 v31, vcc_lo, 0, v197, vcc_lo
	s_delay_alu instid0(VALU_DEP_3) | instskip(SKIP_3) | instid1(VALU_DEP_2)
	v_lshlrev_b64 v[26:27], 4, v[26:27]
	v_add_co_u32 v24, vcc_lo, s10, v24
	v_add_co_ci_u32_e32 v25, vcc_lo, s11, v25, vcc_lo
	s_mul_i32 s3, s13, 0x258
	v_add_co_u32 v24, vcc_lo, v24, v26
	s_mul_i32 s2, s12, 0x258
	s_add_i32 s3, s5, s3
	v_add_co_ci_u32_e32 v25, vcc_lo, v25, v27, vcc_lo
	s_lshl_b64 s[10:11], s[2:3], 4
	s_sub_i32 s5, s9, s12
	v_add_co_u32 v26, vcc_lo, v24, s10
	s_delay_alu instid0(VALU_DEP_2) | instskip(SKIP_1) | instid1(VALU_DEP_2)
	v_add_co_ci_u32_e32 v27, vcc_lo, s11, v25, vcc_lo
	s_mul_i32 s4, s12, 0xfffff9e8
	v_add_co_u32 v32, vcc_lo, v26, s10
	s_delay_alu instid0(VALU_DEP_2) | instskip(SKIP_1) | instid1(VALU_DEP_2)
	v_add_co_ci_u32_e32 v33, vcc_lo, s11, v27, vcc_lo
	s_add_i32 s5, s5, s8
	v_add_co_u32 v46, vcc_lo, v32, s10
	s_delay_alu instid0(VALU_DEP_2)
	v_add_co_ci_u32_e32 v47, vcc_lo, s11, v33, vcc_lo
	s_lshl_b64 s[2:3], s[4:5], 4
	s_clause 0x1
	scratch_store_b64 off, v[14:15], off
	scratch_store_b64 off, v[17:18], off offset:8
	s_clause 0x3
	global_load_b128 v[20:23], v[8:9], off offset:1408
	global_load_b128 v[12:15], v[17:18], off offset:2816
	;; [unrolled: 1-line block ×4, first 2 shown]
	s_clause 0x1
	global_load_b128 v[34:37], v[24:25], off
	global_load_b128 v[38:41], v[26:27], off
	v_add_co_u32 v24, vcc_lo, v46, s2
	v_add_co_ci_u32_e32 v25, vcc_lo, s3, v47, vcc_lo
	s_clause 0x1
	global_load_b128 v[42:45], v[32:33], off
	global_load_b128 v[46:49], v[46:47], off
	v_add_co_u32 v26, vcc_lo, v24, s10
	v_add_co_ci_u32_e32 v27, vcc_lo, s11, v25, vcc_lo
	global_load_b128 v[50:53], v[24:25], off
	v_add_co_u32 v58, vcc_lo, v26, s10
	v_add_co_ci_u32_e32 v59, vcc_lo, s11, v27, vcc_lo
	;; [unrolled: 3-line block ×3, first 2 shown]
	global_load_b128 v[24:27], v[30:31], off offset:2560
	global_load_b128 v[58:61], v[58:59], off
	global_load_b128 v[28:31], v[28:29], off offset:3968
	global_load_b128 v[62:65], v[32:33], off
	s_load_b64 s[8:9], s[0:1], 0x38
	s_load_b128 s[4:7], s[6:7], 0x0
	v_cmp_gt_u16_e32 vcc_lo, 0x78, v98
	s_waitcnt vmcnt(9)
	v_mul_f64 v[66:67], v[36:37], v[2:3]
	v_mul_f64 v[68:69], v[34:35], v[2:3]
	s_waitcnt vmcnt(8)
	v_mul_f64 v[70:71], v[40:41], v[22:23]
	v_mul_f64 v[72:73], v[38:39], v[22:23]
	;; [unrolled: 3-line block ×8, first 2 shown]
	v_fma_f64 v[34:35], v[34:35], v[0:1], v[66:67]
	v_fma_f64 v[36:37], v[36:37], v[0:1], -v[68:69]
	v_fma_f64 v[38:39], v[38:39], v[20:21], v[70:71]
	v_fma_f64 v[40:41], v[40:41], v[20:21], -v[72:73]
	;; [unrolled: 2-line block ×6, first 2 shown]
	ds_store_b128 v195, v[34:37]
	ds_store_b128 v195, v[50:53] offset:3840
	ds_store_b128 v195, v[38:41] offset:9600
	;; [unrolled: 1-line block ×3, first 2 shown]
	v_fma_f64 v[58:59], v[58:59], v[24:25], v[90:91]
	v_fma_f64 v[60:61], v[60:61], v[24:25], -v[92:93]
	v_fma_f64 v[62:63], v[62:63], v[28:29], v[94:95]
	v_fma_f64 v[64:65], v[64:65], v[28:29], -v[96:97]
	ds_store_b128 v195, v[42:45] offset:19200
	ds_store_b128 v195, v[58:61] offset:23040
	;; [unrolled: 1-line block ×4, first 2 shown]
	s_and_saveexec_b32 s12, vcc_lo
	s_cbranch_execz .LBB0_3
; %bb.2:
	v_add_co_u32 v32, s2, v32, s2
	s_delay_alu instid0(VALU_DEP_1) | instskip(SKIP_1) | instid1(VALU_DEP_1)
	v_add_co_ci_u32_e64 v33, s2, s3, v33, s2
	v_add_co_u32 v36, s2, 0x1000, v196
	v_add_co_ci_u32_e64 v37, s2, 0, v197, s2
	s_delay_alu instid0(VALU_DEP_4) | instskip(NEXT) | instid1(VALU_DEP_1)
	v_add_co_u32 v44, s2, v32, s10
	v_add_co_ci_u32_e64 v45, s2, s11, v33, s2
	global_load_b128 v[32:35], v[32:33], off
	global_load_b128 v[36:39], v[36:37], off offset:3584
	global_load_b128 v[40:43], v[44:45], off
	v_add_co_u32 v48, s2, v44, s10
	s_delay_alu instid0(VALU_DEP_1) | instskip(SKIP_2) | instid1(VALU_DEP_1)
	v_add_co_ci_u32_e64 v49, s2, s11, v45, s2
	scratch_load_b64 v[44:45], off, off offset:8 ; 8-byte Folded Reload
	v_add_co_u32 v52, s2, 0x6000, v196
	v_add_co_ci_u32_e64 v53, s2, 0, v197, s2
	v_add_co_u32 v56, s2, 0x8000, v196
	s_delay_alu instid0(VALU_DEP_1) | instskip(SKIP_1) | instid1(VALU_DEP_1)
	v_add_co_ci_u32_e64 v57, s2, 0, v197, s2
	v_add_co_u32 v60, s2, v48, s10
	v_add_co_ci_u32_e64 v61, s2, s11, v49, s2
	s_waitcnt vmcnt(0)
	global_load_b128 v[44:47], v[44:45], off offset:896
	global_load_b128 v[48:51], v[48:49], off
	s_clause 0x1
	global_load_b128 v[52:55], v[52:53], off offset:2304
	global_load_b128 v[56:59], v[56:57], off offset:3712
	global_load_b128 v[60:63], v[60:61], off
	v_mul_f64 v[64:65], v[34:35], v[38:39]
	v_mul_f64 v[38:39], v[32:33], v[38:39]
	s_delay_alu instid0(VALU_DEP_2) | instskip(NEXT) | instid1(VALU_DEP_2)
	v_fma_f64 v[32:33], v[32:33], v[36:37], v[64:65]
	v_fma_f64 v[34:35], v[34:35], v[36:37], -v[38:39]
	s_waitcnt vmcnt(4)
	v_mul_f64 v[66:67], v[42:43], v[46:47]
	v_mul_f64 v[46:47], v[40:41], v[46:47]
	s_waitcnt vmcnt(2)
	v_mul_f64 v[68:69], v[50:51], v[54:55]
	v_mul_f64 v[54:55], v[48:49], v[54:55]
	;; [unrolled: 3-line block ×3, first 2 shown]
	v_fma_f64 v[36:37], v[40:41], v[44:45], v[66:67]
	v_fma_f64 v[38:39], v[42:43], v[44:45], -v[46:47]
	v_fma_f64 v[40:41], v[48:49], v[52:53], v[68:69]
	v_fma_f64 v[42:43], v[50:51], v[52:53], -v[54:55]
	v_fma_f64 v[44:45], v[60:61], v[56:57], v[70:71]
	v_fma_f64 v[46:47], v[62:63], v[56:57], -v[58:59]
	ds_store_b128 v195, v[36:39] offset:17280
	ds_store_b128 v195, v[40:43] offset:26880
	;; [unrolled: 1-line block ×4, first 2 shown]
.LBB0_3:
	s_or_b32 exec_lo, exec_lo, s12
	s_waitcnt lgkmcnt(0)
	s_waitcnt_vscnt null, 0x0
	s_barrier
	buffer_gl0_inv
	ds_load_b128 v[40:43], v195
	ds_load_b128 v[44:47], v195 offset:3840
	ds_load_b128 v[52:55], v195 offset:9600
	;; [unrolled: 1-line block ×7, first 2 shown]
                                        ; implicit-def: $vgpr36_vgpr37
                                        ; implicit-def: $vgpr64_vgpr65
                                        ; implicit-def: $vgpr56_vgpr57
                                        ; implicit-def: $vgpr32_vgpr33
	s_and_saveexec_b32 s2, vcc_lo
	s_cbranch_execz .LBB0_5
; %bb.4:
	ds_load_b128 v[32:35], v195 offset:17280
	ds_load_b128 v[56:59], v195 offset:26880
	;; [unrolled: 1-line block ×4, first 2 shown]
.LBB0_5:
	s_or_b32 exec_lo, exec_lo, s2
	s_waitcnt lgkmcnt(3)
	v_add_f64 v[76:77], v[40:41], -v[76:77]
	v_add_f64 v[78:79], v[42:43], -v[78:79]
	s_waitcnt lgkmcnt(1)
	v_add_f64 v[72:73], v[52:53], -v[72:73]
	v_add_f64 v[74:75], v[54:55], -v[74:75]
	;; [unrolled: 1-line block ×4, first 2 shown]
	s_waitcnt lgkmcnt(0)
	v_add_f64 v[60:61], v[48:49], -v[60:61]
	v_add_f64 v[62:63], v[50:51], -v[62:63]
	;; [unrolled: 1-line block ×4, first 2 shown]
	s_load_b64 s[2:3], s[0:1], 0x8
	s_waitcnt lgkmcnt(0)
	s_barrier
	buffer_gl0_inv
	v_fma_f64 v[70:71], v[40:41], 2.0, -v[76:77]
	v_fma_f64 v[82:83], v[42:43], 2.0, -v[78:79]
	v_add_f64 v[40:41], v[36:37], -v[56:57]
	v_add_f64 v[42:43], v[38:39], -v[58:59]
	v_fma_f64 v[52:53], v[52:53], 2.0, -v[72:73]
	v_fma_f64 v[54:55], v[54:55], 2.0, -v[74:75]
	;; [unrolled: 1-line block ×6, first 2 shown]
	v_add_f64 v[44:45], v[76:77], -v[74:75]
	v_add_f64 v[46:47], v[78:79], v[72:73]
	v_fma_f64 v[72:73], v[32:33], 2.0, -v[92:93]
	v_fma_f64 v[74:75], v[34:35], 2.0, -v[64:65]
	v_add_f64 v[48:49], v[68:69], -v[62:63]
	v_add_f64 v[50:51], v[80:81], v[60:61]
	v_fma_f64 v[36:37], v[36:37], 2.0, -v[40:41]
	v_fma_f64 v[38:39], v[38:39], 2.0, -v[42:43]
	v_add_f64 v[52:53], v[70:71], -v[52:53]
	v_add_f64 v[54:55], v[82:83], -v[54:55]
	;; [unrolled: 1-line block ×3, first 2 shown]
	v_add_f64 v[150:151], v[42:43], v[92:93]
	v_add_f64 v[56:57], v[84:85], -v[88:89]
	v_add_f64 v[58:59], v[86:87], -v[90:91]
	v_fma_f64 v[32:33], v[76:77], 2.0, -v[44:45]
	v_fma_f64 v[34:35], v[78:79], 2.0, -v[46:47]
	v_add_co_u32 v92, null, 0xf0, v192
	v_fma_f64 v[60:61], v[68:69], 2.0, -v[48:49]
	v_fma_f64 v[62:63], v[80:81], 2.0, -v[50:51]
	s_delay_alu instid0(VALU_DEP_3)
	v_lshlrev_b32_e32 v201, 6, v92
	v_add_f64 v[144:145], v[36:37], -v[72:73]
	v_add_f64 v[146:147], v[38:39], -v[74:75]
	v_fma_f64 v[64:65], v[70:71], 2.0, -v[52:53]
	v_fma_f64 v[66:67], v[82:83], 2.0, -v[54:55]
	v_lshlrev_b16 v72, 2, v192
	v_add_co_u32 v73, null, 0x1e0, v192
	v_fma_f64 v[68:69], v[84:85], 2.0, -v[56:57]
	v_fma_f64 v[70:71], v[86:87], 2.0, -v[58:59]
	s_delay_alu instid0(VALU_DEP_4) | instskip(NEXT) | instid1(VALU_DEP_1)
	v_and_b32_e32 v72, 0xffff, v72
	v_lshlrev_b32_e32 v200, 4, v72
	v_lshlrev_b32_e32 v72, 6, v73
	scratch_store_b32 off, v72, off offset:16 ; 4-byte Folded Spill
	ds_store_b128 v200, v[52:55] offset:32
	ds_store_b128 v200, v[44:47] offset:48
	ds_store_b128 v200, v[64:67]
	ds_store_b128 v200, v[32:35] offset:16
	ds_store_b128 v201, v[68:71]
	ds_store_b128 v201, v[60:63] offset:16
	ds_store_b128 v201, v[56:59] offset:32
	;; [unrolled: 1-line block ×3, first 2 shown]
	s_and_saveexec_b32 s0, vcc_lo
	s_cbranch_execz .LBB0_7
; %bb.6:
	v_fma_f64 v[32:33], v[40:41], 2.0, -v[148:149]
	scratch_load_b32 v40, off, off offset:16 ; 4-byte Folded Reload
	v_fma_f64 v[38:39], v[38:39], 2.0, -v[146:147]
	v_fma_f64 v[36:37], v[36:37], 2.0, -v[144:145]
	;; [unrolled: 1-line block ×3, first 2 shown]
	s_waitcnt vmcnt(0)
	ds_store_b128 v40, v[36:39]
	ds_store_b128 v40, v[32:35] offset:16
	ds_store_b128 v40, v[144:147] offset:32
	;; [unrolled: 1-line block ×3, first 2 shown]
.LBB0_7:
	s_or_b32 exec_lo, exec_lo, s0
	v_and_b32_e32 v68, 3, v192
	s_waitcnt lgkmcnt(0)
	s_waitcnt_vscnt null, 0x0
	s_barrier
	buffer_gl0_inv
	s_mov_b32 s10, 0x134454ff
	v_mad_u64_u32 v[36:37], null, 0x90, v68, s[2:3]
	s_mov_b32 s11, 0x3fee6f0e
	s_mov_b32 s1, 0xbfee6f0e
	;; [unrolled: 1-line block ×6, first 2 shown]
	s_clause 0x8
	global_load_b128 v[52:55], v[36:37], off offset:32
	global_load_b128 v[60:63], v[36:37], off offset:64
	;; [unrolled: 1-line block ×4, first 2 shown]
	global_load_b128 v[32:35], v[36:37], off
	global_load_b128 v[48:51], v[36:37], off offset:16
	global_load_b128 v[44:47], v[36:37], off offset:48
	;; [unrolled: 1-line block ×4, first 2 shown]
	ds_load_b128 v[69:72], v195 offset:11520
	ds_load_b128 v[73:76], v195 offset:19200
	;; [unrolled: 1-line block ×9, first 2 shown]
	s_mov_b32 s12, s14
	s_mov_b32 s16, 0x372fe950
	;; [unrolled: 1-line block ×5, first 2 shown]
	v_and_b32_e32 v91, 0xff, v192
	s_waitcnt vmcnt(8) lgkmcnt(8)
	v_mul_f64 v[109:110], v[69:70], v[54:55]
	s_waitcnt vmcnt(7) lgkmcnt(7)
	v_mul_f64 v[111:112], v[75:76], v[62:63]
	v_mul_f64 v[113:114], v[73:74], v[62:63]
	s_waitcnt vmcnt(6) lgkmcnt(6)
	v_mul_f64 v[115:116], v[77:78], v[58:59]
	s_waitcnt vmcnt(5) lgkmcnt(5)
	v_mul_f64 v[117:118], v[81:82], v[66:67]
	v_mul_f64 v[121:122], v[79:80], v[58:59]
	v_mul_f64 v[89:90], v[71:72], v[54:55]
	v_mul_f64 v[119:120], v[83:84], v[66:67]
	s_waitcnt vmcnt(4) lgkmcnt(1)
	v_mul_f64 v[123:124], v[103:104], v[34:35]
	v_mul_f64 v[125:126], v[101:102], v[34:35]
	v_fma_f64 v[109:110], v[71:72], v[52:53], v[109:110]
	v_fma_f64 v[73:74], v[73:74], v[60:61], -v[111:112]
	v_fma_f64 v[75:76], v[75:76], v[60:61], v[113:114]
	v_fma_f64 v[79:80], v[79:80], v[56:57], v[115:116]
	;; [unrolled: 1-line block ×3, first 2 shown]
	v_fma_f64 v[77:78], v[77:78], v[56:57], -v[121:122]
	v_fma_f64 v[89:90], v[69:70], v[52:53], -v[89:90]
	;; [unrolled: 1-line block ×3, first 2 shown]
	s_waitcnt vmcnt(3) lgkmcnt(0)
	v_mul_f64 v[69:70], v[107:108], v[50:51]
	v_mul_f64 v[71:72], v[105:106], v[50:51]
	s_waitcnt vmcnt(2)
	v_mul_f64 v[111:112], v[87:88], v[46:47]
	v_mul_f64 v[113:114], v[85:86], v[46:47]
	s_waitcnt vmcnt(1)
	v_mul_f64 v[115:116], v[95:96], v[42:43]
	s_waitcnt vmcnt(0)
	v_mul_f64 v[117:118], v[99:100], v[38:39]
	v_mul_f64 v[119:120], v[93:94], v[42:43]
	;; [unrolled: 1-line block ×3, first 2 shown]
	v_fma_f64 v[101:102], v[101:102], v[32:33], -v[123:124]
	v_fma_f64 v[103:104], v[103:104], v[32:33], v[125:126]
	v_add_f64 v[152:153], v[109:110], -v[75:76]
	v_add_f64 v[123:124], v[75:76], v[79:80]
	v_add_f64 v[125:126], v[109:110], v[83:84]
	;; [unrolled: 1-line block ×3, first 2 shown]
	v_add_f64 v[135:136], v[89:90], -v[73:74]
	v_add_f64 v[127:128], v[89:90], v[81:82]
	v_fma_f64 v[105:106], v[105:106], v[48:49], -v[69:70]
	v_fma_f64 v[107:108], v[107:108], v[48:49], v[71:72]
	v_fma_f64 v[85:86], v[85:86], v[44:45], -v[111:112]
	v_fma_f64 v[87:88], v[87:88], v[44:45], v[113:114]
	v_fma_f64 v[93:94], v[93:94], v[40:41], -v[115:116]
	v_fma_f64 v[97:98], v[97:98], v[36:37], -v[117:118]
	v_fma_f64 v[95:96], v[95:96], v[40:41], v[119:120]
	v_fma_f64 v[99:100], v[99:100], v[36:37], v[121:122]
	v_add_f64 v[111:112], v[109:110], -v[83:84]
	v_add_f64 v[115:116], v[89:90], -v[81:82]
	;; [unrolled: 1-line block ×10, first 2 shown]
	ds_load_b128 v[69:72], v195
	v_add_f64 v[89:90], v[101:102], v[89:90]
	s_waitcnt lgkmcnt(0)
	s_barrier
	buffer_gl0_inv
	v_fma_f64 v[119:120], v[123:124], -0.5, v[103:104]
	v_fma_f64 v[121:122], v[125:126], -0.5, v[103:104]
	;; [unrolled: 1-line block ×4, first 2 shown]
	v_add_f64 v[168:169], v[69:70], v[105:106]
	v_add_f64 v[174:175], v[71:72], v[107:108]
	;; [unrolled: 1-line block ×7, first 2 shown]
	v_add_f64 v[170:171], v[107:108], -v[99:100]
	v_add_f64 v[172:173], v[87:88], -v[95:96]
	;; [unrolled: 1-line block ×4, first 2 shown]
	v_add_f64 v[73:74], v[89:90], v[73:74]
	v_fma_f64 v[160:161], v[115:116], s[0:1], v[119:120]
	v_fma_f64 v[162:163], v[117:118], s[10:11], v[121:122]
	;; [unrolled: 1-line block ×8, first 2 shown]
	v_add_f64 v[75:76], v[101:102], v[75:76]
	v_fma_f64 v[103:104], v[127:128], -0.5, v[69:70]
	v_fma_f64 v[69:70], v[129:130], -0.5, v[69:70]
	;; [unrolled: 1-line block ×4, first 2 shown]
	v_add_f64 v[127:128], v[135:136], v[137:138]
	v_add_f64 v[129:130], v[139:140], v[141:142]
	v_add_f64 v[131:132], v[152:153], v[154:155]
	v_add_f64 v[133:134], v[156:157], v[158:159]
	v_add_f64 v[152:153], v[99:100], -v[95:96]
	v_add_f64 v[154:155], v[95:96], -v[99:100]
	v_add_f64 v[73:74], v[73:74], v[77:78]
	v_fma_f64 v[135:136], v[117:118], s[12:13], v[160:161]
	v_fma_f64 v[137:138], v[115:116], s[12:13], v[162:163]
	;; [unrolled: 1-line block ×8, first 2 shown]
	v_add_f64 v[119:120], v[105:106], -v[85:86]
	v_add_f64 v[105:106], v[85:86], -v[105:106]
	v_add_f64 v[125:126], v[107:108], -v[87:88]
	v_add_f64 v[107:108], v[87:88], -v[107:108]
	v_add_f64 v[85:86], v[168:169], v[85:86]
	v_add_f64 v[87:88], v[174:175], v[87:88]
	v_add_f64 v[121:122], v[97:98], -v[93:94]
	v_fma_f64 v[89:90], v[170:171], s[10:11], v[103:104]
	v_fma_f64 v[101:102], v[170:171], s[0:1], v[103:104]
	;; [unrolled: 1-line block ×5, first 2 shown]
	v_add_f64 v[123:124], v[93:94], -v[97:98]
	v_fma_f64 v[109:110], v[176:177], s[10:11], v[109:110]
	v_fma_f64 v[69:70], v[172:173], s[10:11], v[69:70]
	;; [unrolled: 1-line block ×3, first 2 shown]
	v_add_f64 v[75:76], v[75:76], v[79:80]
	v_add_f64 v[73:74], v[73:74], v[81:82]
	v_fma_f64 v[135:136], v[131:132], s[16:17], v[135:136]
	v_fma_f64 v[137:138], v[133:134], s[16:17], v[137:138]
	;; [unrolled: 1-line block ×8, first 2 shown]
	v_add_f64 v[107:108], v[107:108], v[154:155]
	v_add_f64 v[85:86], v[85:86], v[93:94]
	;; [unrolled: 1-line block ×5, first 2 shown]
	v_fma_f64 v[77:78], v[172:173], s[14:15], v[89:90]
	v_fma_f64 v[79:80], v[172:173], s[12:13], v[101:102]
	;; [unrolled: 1-line block ×5, first 2 shown]
	v_add_f64 v[105:106], v[105:106], v[123:124]
	v_fma_f64 v[95:96], v[178:179], s[14:15], v[109:110]
	v_fma_f64 v[69:70], v[170:171], s[12:13], v[69:70]
	;; [unrolled: 1-line block ×3, first 2 shown]
	v_add_f64 v[75:76], v[75:76], v[83:84]
	v_mul_f64 v[103:104], v[135:136], s[14:15]
	v_mul_f64 v[109:110], v[137:138], s[10:11]
	;; [unrolled: 1-line block ×8, first 2 shown]
	v_add_f64 v[85:86], v[85:86], v[97:98]
	v_add_f64 v[87:88], v[87:88], v[99:100]
	v_fma_f64 v[97:98], v[119:120], s[16:17], v[77:78]
	v_fma_f64 v[99:100], v[119:120], s[16:17], v[79:80]
	;; [unrolled: 1-line block ×10, first 2 shown]
	v_fma_f64 v[111:112], v[117:118], s[14:15], -v[125:126]
	v_fma_f64 v[113:114], v[135:136], s[18:19], v[127:128]
	v_fma_f64 v[109:110], v[115:116], s[10:11], -v[123:124]
	v_fma_f64 v[115:116], v[137:138], s[16:17], v[129:130]
	v_fma_f64 v[117:118], v[139:140], s[0:1], -v[131:132]
	v_fma_f64 v[123:124], v[141:142], s[12:13], -v[133:134]
	v_add_f64 v[69:70], v[85:86], v[73:74]
	v_add_f64 v[71:72], v[87:88], v[75:76]
	v_add_f64 v[73:74], v[85:86], -v[73:74]
	v_add_f64 v[75:76], v[87:88], -v[75:76]
	v_add_f64 v[77:78], v[97:98], v[101:102]
	v_add_f64 v[81:82], v[89:90], v[103:104]
	;; [unrolled: 1-line block ×8, first 2 shown]
	v_add_f64 v[97:98], v[97:98], -v[101:102]
	v_add_f64 v[101:102], v[89:90], -v[103:104]
	v_mul_lo_u16 v89, 0xcd, v91
	v_add_f64 v[105:106], v[105:106], -v[109:110]
	v_add_f64 v[109:110], v[99:100], -v[111:112]
	;; [unrolled: 1-line block ×6, first 2 shown]
	v_lshrrev_b16 v193, 13, v89
	v_lshrrev_b32_e32 v89, 2, v192
	s_delay_alu instid0(VALU_DEP_2) | instskip(NEXT) | instid1(VALU_DEP_2)
	v_mul_lo_u16 v90, v193, 40
	v_mul_u32_u24_e32 v89, 40, v89
	s_delay_alu instid0(VALU_DEP_2) | instskip(NEXT) | instid1(VALU_DEP_2)
	v_sub_nc_u16 v90, v192, v90
	v_or_b32_e32 v68, v89, v68
	s_delay_alu instid0(VALU_DEP_2) | instskip(NEXT) | instid1(VALU_DEP_2)
	v_and_b32_e32 v194, 0xff, v90
	v_lshlrev_b32_e32 v203, 4, v68
	ds_store_b128 v203, v[69:72]
	ds_store_b128 v203, v[77:80] offset:64
	ds_store_b128 v203, v[81:84] offset:128
	;; [unrolled: 1-line block ×9, first 2 shown]
	v_mad_u64_u32 v[113:114], null, 0x90, v194, s[2:3]
	s_waitcnt lgkmcnt(0)
	s_barrier
	buffer_gl0_inv
	s_clause 0x8
	global_load_b128 v[88:91], v[113:114], off offset:608
	global_load_b128 v[100:103], v[113:114], off offset:640
	;; [unrolled: 1-line block ×9, first 2 shown]
	ds_load_b128 v[104:107], v195 offset:11520
	ds_load_b128 v[108:111], v195 offset:19200
	;; [unrolled: 1-line block ×9, first 2 shown]
	s_waitcnt vmcnt(8) lgkmcnt(8)
	v_mul_f64 v[93:94], v[106:107], v[90:91]
	v_mul_f64 v[152:153], v[104:105], v[90:91]
	s_waitcnt vmcnt(7) lgkmcnt(7)
	v_mul_f64 v[154:155], v[110:111], v[102:103]
	v_mul_f64 v[156:157], v[108:109], v[102:103]
	s_waitcnt vmcnt(6) lgkmcnt(6)
	v_mul_f64 v[158:159], v[112:113], v[98:99]
	s_waitcnt vmcnt(5) lgkmcnt(5)
	v_mul_f64 v[160:161], v[116:117], v[122:123]
	v_mul_f64 v[162:163], v[118:119], v[122:123]
	;; [unrolled: 1-line block ×3, first 2 shown]
	s_waitcnt vmcnt(4) lgkmcnt(1)
	v_mul_f64 v[166:167], v[138:139], v[70:71]
	v_mul_f64 v[168:169], v[136:137], v[70:71]
	v_fma_f64 v[93:94], v[104:105], v[88:89], -v[93:94]
	v_fma_f64 v[152:153], v[106:107], v[88:89], v[152:153]
	v_fma_f64 v[108:109], v[108:109], v[100:101], -v[154:155]
	v_fma_f64 v[110:111], v[110:111], v[100:101], v[156:157]
	v_fma_f64 v[114:115], v[114:115], v[96:97], v[158:159]
	;; [unrolled: 1-line block ×3, first 2 shown]
	v_fma_f64 v[116:117], v[116:117], v[120:121], -v[162:163]
	v_fma_f64 v[112:113], v[112:113], v[96:97], -v[164:165]
	s_waitcnt vmcnt(3) lgkmcnt(0)
	v_mul_f64 v[104:105], v[142:143], v[86:87]
	s_waitcnt vmcnt(2)
	v_mul_f64 v[154:155], v[126:127], v[82:83]
	v_mul_f64 v[156:157], v[124:125], v[82:83]
	s_waitcnt vmcnt(1)
	v_mul_f64 v[158:159], v[130:131], v[78:79]
	s_waitcnt vmcnt(0)
	v_mul_f64 v[160:161], v[134:135], v[74:75]
	v_mul_f64 v[162:163], v[128:129], v[78:79]
	;; [unrolled: 1-line block ×3, first 2 shown]
	v_fma_f64 v[136:137], v[136:137], v[68:69], -v[166:167]
	v_fma_f64 v[138:139], v[138:139], v[68:69], v[168:169]
	v_mul_f64 v[106:107], v[140:141], v[86:87]
	v_add_f64 v[178:179], v[93:94], -v[108:109]
	v_add_f64 v[182:183], v[108:109], -v[93:94]
	v_add_f64 v[166:167], v[110:111], v[114:115]
	v_add_f64 v[168:169], v[152:153], v[118:119]
	;; [unrolled: 1-line block ×4, first 2 shown]
	v_fma_f64 v[140:141], v[140:141], v[84:85], -v[104:105]
	v_fma_f64 v[124:125], v[124:125], v[80:81], -v[154:155]
	v_fma_f64 v[126:127], v[126:127], v[80:81], v[156:157]
	v_fma_f64 v[128:129], v[128:129], v[76:77], -v[158:159]
	v_fma_f64 v[132:133], v[132:133], v[72:73], -v[160:161]
	v_fma_f64 v[130:131], v[130:131], v[76:77], v[162:163]
	v_fma_f64 v[134:135], v[134:135], v[72:73], v[164:165]
	v_add_f64 v[154:155], v[152:153], -v[118:119]
	v_add_f64 v[156:157], v[110:111], -v[114:115]
	;; [unrolled: 1-line block ×3, first 2 shown]
	v_fma_f64 v[142:143], v[142:143], v[84:85], v[106:107]
	v_add_f64 v[160:161], v[108:109], -v[112:113]
	v_add_f64 v[180:181], v[116:117], -v[112:113]
	v_add_f64 v[184:185], v[112:113], -v[116:117]
	v_add_f64 v[186:187], v[152:153], -v[110:111]
	v_add_f64 v[188:189], v[118:119], -v[114:115]
	v_add_f64 v[190:191], v[110:111], -v[152:153]
	v_add_f64 v[204:205], v[114:115], -v[118:119]
	ds_load_b128 v[104:107], v195
	v_add_f64 v[93:94], v[136:137], v[93:94]
	s_waitcnt lgkmcnt(0)
	s_barrier
	buffer_gl0_inv
	v_fma_f64 v[162:163], v[166:167], -0.5, v[138:139]
	v_fma_f64 v[164:165], v[168:169], -0.5, v[138:139]
	;; [unrolled: 1-line block ×4, first 2 shown]
	v_add_f64 v[214:215], v[104:105], v[140:141]
	v_add_f64 v[136:137], v[138:139], v[152:153]
	v_add_f64 v[170:171], v[124:125], v[128:129]
	v_add_f64 v[172:173], v[140:141], v[132:133]
	v_add_f64 v[174:175], v[126:127], v[130:131]
	v_add_f64 v[218:219], v[126:127], -v[130:131]
	v_add_f64 v[222:223], v[140:141], -v[132:133]
	;; [unrolled: 1-line block ×3, first 2 shown]
	v_add_f64 v[176:177], v[142:143], v[134:135]
	v_add_f64 v[220:221], v[106:107], v[142:143]
	v_add_f64 v[216:217], v[142:143], -v[134:135]
	v_add_f64 v[93:94], v[93:94], v[108:109]
	v_fma_f64 v[206:207], v[158:159], s[0:1], v[162:163]
	v_fma_f64 v[208:209], v[160:161], s[10:11], v[164:165]
	;; [unrolled: 1-line block ×8, first 2 shown]
	v_fma_f64 v[138:139], v[170:171], -0.5, v[104:105]
	v_fma_f64 v[104:105], v[172:173], -0.5, v[104:105]
	;; [unrolled: 1-line block ×3, first 2 shown]
	v_add_f64 v[170:171], v[178:179], v[180:181]
	v_add_f64 v[172:173], v[182:183], v[184:185]
	;; [unrolled: 1-line block ×3, first 2 shown]
	v_fma_f64 v[106:107], v[176:177], -0.5, v[106:107]
	v_add_f64 v[176:177], v[190:191], v[204:205]
	v_add_f64 v[108:109], v[136:137], v[110:111]
	v_add_f64 v[186:187], v[134:135], -v[130:131]
	v_add_f64 v[188:189], v[130:131], -v[134:135]
	v_add_f64 v[93:94], v[93:94], v[112:113]
	v_fma_f64 v[178:179], v[160:161], s[12:13], v[206:207]
	v_fma_f64 v[180:181], v[158:159], s[12:13], v[208:209]
	v_fma_f64 v[182:183], v[154:155], s[12:13], v[210:211]
	v_fma_f64 v[184:185], v[156:157], s[12:13], v[212:213]
	v_fma_f64 v[156:157], v[156:157], s[14:15], v[168:169]
	v_fma_f64 v[154:155], v[154:155], s[14:15], v[166:167]
	v_fma_f64 v[158:159], v[158:159], s[14:15], v[164:165]
	v_fma_f64 v[160:161], v[160:161], s[14:15], v[162:163]
	v_add_f64 v[162:163], v[140:141], -v[124:125]
	v_add_f64 v[140:141], v[124:125], -v[140:141]
	;; [unrolled: 1-line block ×4, first 2 shown]
	v_add_f64 v[124:125], v[214:215], v[124:125]
	v_add_f64 v[126:127], v[220:221], v[126:127]
	v_add_f64 v[164:165], v[132:133], -v[128:129]
	v_add_f64 v[166:167], v[128:129], -v[132:133]
	v_fma_f64 v[110:111], v[216:217], s[10:11], v[138:139]
	v_fma_f64 v[136:137], v[216:217], s[0:1], v[138:139]
	v_fma_f64 v[138:139], v[218:219], s[0:1], v[104:105]
	v_fma_f64 v[190:191], v[222:223], s[0:1], v[152:153]
	v_fma_f64 v[152:153], v[222:223], s[10:11], v[152:153]
	v_fma_f64 v[204:205], v[224:225], s[10:11], v[106:107]
	v_fma_f64 v[104:105], v[218:219], s[10:11], v[104:105]
	v_fma_f64 v[106:107], v[224:225], s[0:1], v[106:107]
	v_add_f64 v[108:109], v[108:109], v[114:115]
	v_add_f64 v[93:94], v[93:94], v[116:117]
	v_fma_f64 v[178:179], v[174:175], s[16:17], v[178:179]
	v_fma_f64 v[180:181], v[176:177], s[16:17], v[180:181]
	;; [unrolled: 1-line block ×8, first 2 shown]
	v_add_f64 v[142:143], v[142:143], v[188:189]
	v_add_f64 v[124:125], v[124:125], v[128:129]
	;; [unrolled: 1-line block ×6, first 2 shown]
	v_fma_f64 v[110:111], v[218:219], s[14:15], v[110:111]
	v_fma_f64 v[114:115], v[216:217], s[14:15], v[138:139]
	;; [unrolled: 1-line block ×8, first 2 shown]
	v_add_f64 v[116:117], v[108:109], v[118:119]
	v_mul_f64 v[138:139], v[178:179], s[14:15]
	v_mul_f64 v[152:153], v[180:181], s[10:11]
	;; [unrolled: 1-line block ×8, first 2 shown]
	v_add_f64 v[124:125], v[124:125], v[132:133]
	v_add_f64 v[126:127], v[126:127], v[134:135]
	v_fma_f64 v[132:133], v[162:163], s[16:17], v[110:111]
	v_fma_f64 v[186:187], v[164:165], s[16:17], v[128:129]
	;; [unrolled: 1-line block ×10, first 2 shown]
	v_fma_f64 v[156:157], v[158:159], s[10:11], -v[166:167]
	v_fma_f64 v[158:159], v[160:161], s[14:15], -v[168:169]
	v_fma_f64 v[160:161], v[178:179], s[18:19], v[170:171]
	v_fma_f64 v[166:167], v[180:181], s[16:17], v[172:173]
	v_fma_f64 v[168:169], v[182:183], s[0:1], -v[174:175]
	v_fma_f64 v[170:171], v[184:185], s[12:13], -v[176:177]
	v_cmp_gt_u16_e64 s0, 0xa0, v192
	v_add_f64 v[104:105], v[124:125], v[93:94]
	v_add_f64 v[106:107], v[126:127], v[116:117]
	v_add_f64 v[110:111], v[126:127], -v[116:117]
	v_add_f64 v[108:109], v[124:125], -v[93:94]
	v_and_b32_e32 v93, 0xffff, v193
	s_delay_alu instid0(VALU_DEP_1) | instskip(NEXT) | instid1(VALU_DEP_1)
	v_mul_u32_u24_e32 v93, 0x190, v93
	v_add_lshl_u32 v202, v93, v194, 4
	v_add_f64 v[112:113], v[132:133], v[138:139]
	v_add_f64 v[116:117], v[162:163], v[154:155]
	;; [unrolled: 1-line block ×8, first 2 shown]
	v_add_f64 v[152:153], v[132:133], -v[138:139]
	v_add_f64 v[172:173], v[162:163], -v[154:155]
	;; [unrolled: 1-line block ×8, first 2 shown]
	ds_store_b128 v202, v[104:107]
	ds_store_b128 v202, v[112:115] offset:640
	ds_store_b128 v202, v[116:119] offset:1280
	;; [unrolled: 1-line block ×9, first 2 shown]
	s_waitcnt lgkmcnt(0)
	s_barrier
	buffer_gl0_inv
	ds_load_b128 v[160:163], v195
	ds_load_b128 v[180:183], v195 offset:6400
	ds_load_b128 v[164:167], v195 offset:12800
	;; [unrolled: 1-line block ×5, first 2 shown]
	s_and_saveexec_b32 s1, s0
	s_cbranch_execz .LBB0_9
; %bb.8:
	ds_load_b128 v[172:175], v195 offset:10240
	ds_load_b128 v[156:159], v195 offset:16640
	;; [unrolled: 1-line block ×6, first 2 shown]
.LBB0_9:
	s_or_b32 exec_lo, exec_lo, s1
	v_add_nc_u32_e32 v95, 0xffffff60, v192
	v_mad_u64_u32 v[93:94], null, 0x50, v192, s[2:3]
	s_mov_b32 s11, 0xbfebb67a
	s_delay_alu instid0(VALU_DEP_2) | instskip(NEXT) | instid1(VALU_DEP_2)
	v_cndmask_b32_e64 v92, v95, v92, s0
	v_add_co_u32 v108, s1, 0x18c0, v93
	s_delay_alu instid0(VALU_DEP_2) | instskip(NEXT) | instid1(VALU_DEP_4)
	v_mul_i32_i24_e32 v95, 0x50, v92
	v_add_co_ci_u32_e64 v109, s1, 0, v94, s1
	v_add_co_u32 v104, s1, 0x1000, v93
	v_mul_hi_i32_i24_e32 v92, 0x50, v92
	v_add_co_ci_u32_e64 v105, s1, 0, v94, s1
	v_add_co_u32 v93, s1, s2, v95
	s_delay_alu instid0(VALU_DEP_1) | instskip(SKIP_4) | instid1(VALU_DEP_1)
	v_add_co_ci_u32_e64 v92, s1, s3, v92, s1
	s_clause 0x1
	global_load_b128 v[124:127], v[108:109], off offset:32
	global_load_b128 v[128:131], v[104:105], off offset:2304
	v_add_co_u32 v110, s1, 0x18c0, v93
	v_add_co_ci_u32_e64 v111, s1, 0, v92, s1
	v_add_co_u32 v106, s1, 0x1000, v93
	s_delay_alu instid0(VALU_DEP_1)
	v_add_co_ci_u32_e64 v107, s1, 0, v92, s1
	s_clause 0x7
	global_load_b128 v[92:95], v[110:111], off offset:32
	global_load_b128 v[116:119], v[106:107], off offset:2304
	;; [unrolled: 1-line block ×8, first 2 shown]
	s_mov_b32 s2, 0xe8584caa
	s_mov_b32 s3, 0x3febb67a
	;; [unrolled: 1-line block ×3, first 2 shown]
	s_waitcnt vmcnt(9) lgkmcnt(2)
	v_mul_f64 v[204:205], v[186:187], v[126:127]
	v_mul_f64 v[206:207], v[184:185], v[126:127]
	s_waitcnt vmcnt(8) lgkmcnt(0)
	v_mul_f64 v[208:209], v[188:189], v[130:131]
	v_mul_f64 v[210:211], v[190:191], v[130:131]
	s_waitcnt vmcnt(7)
	v_mul_f64 v[212:213], v[178:179], v[94:95]
	v_mul_f64 v[214:215], v[176:177], v[94:95]
	s_waitcnt vmcnt(6)
	;; [unrolled: 3-line block ×4, first 2 shown]
	v_mul_f64 v[224:225], v[146:147], v[110:111]
	v_mul_f64 v[226:227], v[144:145], v[110:111]
	v_fma_f64 v[184:185], v[184:185], v[124:125], -v[204:205]
	v_fma_f64 v[186:187], v[186:187], v[124:125], v[206:207]
	v_fma_f64 v[190:191], v[190:191], v[128:129], v[208:209]
	v_fma_f64 v[188:189], v[188:189], v[128:129], -v[210:211]
	v_mul_f64 v[204:205], v[174:175], v[106:107]
	v_mul_f64 v[206:207], v[172:173], v[106:107]
	v_fma_f64 v[176:177], v[176:177], v[92:93], -v[212:213]
	v_fma_f64 v[178:179], v[178:179], v[92:93], v[214:215]
	v_fma_f64 v[148:149], v[148:149], v[116:117], -v[216:217]
	v_fma_f64 v[150:151], v[150:151], v[116:117], v[218:219]
	v_mul_f64 v[208:209], v[166:167], v[142:143]
	v_mul_f64 v[210:211], v[164:165], v[142:143]
	;; [unrolled: 1-line block ×4, first 2 shown]
	v_fma_f64 v[180:181], v[180:181], v[132:133], -v[220:221]
	v_fma_f64 v[182:183], v[182:183], v[132:133], v[222:223]
	v_mul_f64 v[220:221], v[158:159], v[114:115]
	v_mul_f64 v[222:223], v[156:157], v[114:115]
	v_fma_f64 v[144:145], v[144:145], v[108:109], -v[224:225]
	v_fma_f64 v[146:147], v[146:147], v[108:109], v[226:227]
	v_add_f64 v[216:217], v[186:187], v[190:191]
	v_add_f64 v[218:219], v[184:185], v[188:189]
	v_fma_f64 v[172:173], v[172:173], v[104:105], -v[204:205]
	v_fma_f64 v[174:175], v[174:175], v[104:105], v[206:207]
	v_add_f64 v[204:205], v[176:177], v[148:149]
	v_add_f64 v[206:207], v[178:179], v[150:151]
	v_fma_f64 v[164:165], v[164:165], v[140:141], -v[208:209]
	v_fma_f64 v[166:167], v[166:167], v[140:141], v[210:211]
	v_fma_f64 v[168:169], v[168:169], v[136:137], -v[212:213]
	v_fma_f64 v[170:171], v[170:171], v[136:137], v[214:215]
	v_add_f64 v[208:209], v[186:187], -v[190:191]
	v_add_f64 v[210:211], v[184:185], -v[188:189]
	v_fma_f64 v[156:157], v[156:157], v[112:113], -v[220:221]
	v_fma_f64 v[158:159], v[158:159], v[112:113], v[222:223]
	v_fma_f64 v[212:213], v[216:217], -0.5, v[182:183]
	v_fma_f64 v[214:215], v[218:219], -0.5, v[180:181]
	v_add_f64 v[216:217], v[178:179], -v[150:151]
	v_add_f64 v[218:219], v[176:177], -v[148:149]
	v_add_f64 v[180:181], v[180:181], v[184:185]
	v_add_f64 v[182:183], v[182:183], v[186:187]
	v_fma_f64 v[204:205], v[204:205], -0.5, v[172:173]
	v_fma_f64 v[206:207], v[206:207], -0.5, v[174:175]
	v_add_f64 v[172:173], v[172:173], v[176:177]
	v_add_f64 v[174:175], v[174:175], v[178:179]
	;; [unrolled: 1-line block ×4, first 2 shown]
	v_add_f64 v[178:179], v[164:165], -v[168:169]
	v_add_f64 v[184:185], v[152:153], v[156:157]
	v_add_f64 v[186:187], v[154:155], v[158:159]
	v_fma_f64 v[224:225], v[210:211], s[10:11], v[212:213]
	v_fma_f64 v[226:227], v[208:209], s[10:11], v[214:215]
	;; [unrolled: 1-line block ×4, first 2 shown]
	v_add_f64 v[212:213], v[156:157], v[144:145]
	v_add_f64 v[214:215], v[158:159], v[146:147]
	v_fma_f64 v[228:229], v[216:217], s[10:11], v[204:205]
	v_fma_f64 v[230:231], v[218:219], s[2:3], v[206:207]
	;; [unrolled: 1-line block ×4, first 2 shown]
	v_add_f64 v[216:217], v[160:161], v[164:165]
	v_add_f64 v[218:219], v[166:167], -v[170:171]
	v_add_f64 v[166:167], v[162:163], v[166:167]
	v_fma_f64 v[176:177], v[220:221], -0.5, v[160:161]
	v_fma_f64 v[220:221], v[222:223], -0.5, v[162:163]
	v_add_f64 v[158:159], v[158:159], -v[146:147]
	v_add_f64 v[156:157], v[156:157], -v[144:145]
	v_add_f64 v[180:181], v[180:181], v[188:189]
	v_add_f64 v[182:183], v[182:183], v[190:191]
	;; [unrolled: 1-line block ×5, first 2 shown]
	v_mul_f64 v[222:223], v[224:225], s[2:3]
	v_mul_f64 v[232:233], v[226:227], -0.5
	v_mul_f64 v[234:235], v[208:209], s[10:11]
	v_mul_f64 v[236:237], v[210:211], -0.5
	v_fma_f64 v[152:153], v[212:213], -0.5, v[152:153]
	v_fma_f64 v[154:155], v[214:215], -0.5, v[154:155]
	v_mul_f64 v[212:213], v[228:229], -0.5
	v_mul_f64 v[214:215], v[230:231], -0.5
	v_mul_f64 v[238:239], v[206:207], s[2:3]
	v_mul_f64 v[240:241], v[204:205], s[10:11]
	v_add_f64 v[216:217], v[216:217], v[168:169]
	v_add_f64 v[242:243], v[166:167], v[170:171]
	;; [unrolled: 1-line block ×3, first 2 shown]
	v_fma_f64 v[148:149], v[218:219], s[2:3], v[176:177]
	v_fma_f64 v[150:151], v[218:219], s[10:11], v[176:177]
	;; [unrolled: 1-line block ×4, first 2 shown]
	v_add_f64 v[144:145], v[160:161], -v[162:163]
	v_fma_f64 v[208:209], v[208:209], 0.5, v[222:223]
	v_fma_f64 v[210:211], v[210:211], s[2:3], v[232:233]
	v_fma_f64 v[222:223], v[224:225], 0.5, v[234:235]
	v_fma_f64 v[224:225], v[226:227], s[10:11], v[236:237]
	v_fma_f64 v[168:169], v[158:159], s[2:3], v[152:153]
	;; [unrolled: 1-line block ×6, first 2 shown]
	v_fma_f64 v[170:171], v[204:205], 0.5, v[238:239]
	v_fma_f64 v[172:173], v[156:157], s[10:11], v[154:155]
	v_fma_f64 v[174:175], v[206:207], 0.5, v[240:241]
	v_add_f64 v[176:177], v[216:217], v[180:181]
	v_add_f64 v[178:179], v[242:243], v[182:183]
	v_add_f64 v[146:147], v[164:165], -v[166:167]
	v_add_f64 v[180:181], v[216:217], -v[180:181]
	;; [unrolled: 1-line block ×3, first 2 shown]
	v_add_f64 v[184:185], v[148:149], v[208:209]
	v_add_f64 v[188:189], v[150:151], v[210:211]
	v_add_f64 v[204:205], v[148:149], -v[208:209]
	v_add_f64 v[208:209], v[150:151], -v[210:211]
	v_add_f64 v[186:187], v[218:219], v[222:223]
	v_add_f64 v[190:191], v[220:221], v[224:225]
	v_add_f64 v[206:207], v[218:219], -v[222:223]
	v_add_f64 v[148:149], v[158:159], v[212:213]
	v_add_f64 v[150:151], v[226:227], v[214:215]
	v_add_f64 v[152:153], v[168:169], -v[170:171]
	v_add_f64 v[156:157], v[158:159], -v[212:213]
	;; [unrolled: 1-line block ×5, first 2 shown]
	ds_store_b128 v195, v[176:179]
	ds_store_b128 v195, v[184:187] offset:6400
	ds_store_b128 v195, v[188:191] offset:12800
	ds_store_b128 v195, v[180:183] offset:19200
	ds_store_b128 v195, v[204:207] offset:25600
	ds_store_b128 v195, v[208:211] offset:32000
	s_and_saveexec_b32 s1, s0
	s_cbranch_execz .LBB0_11
; %bb.10:
	v_add_f64 v[172:173], v[172:173], v[174:175]
	v_add_f64 v[170:171], v[168:169], v[170:171]
	;; [unrolled: 1-line block ×4, first 2 shown]
	ds_store_b128 v195, v[144:147] offset:23040
	ds_store_b128 v195, v[152:155] offset:29440
	ds_store_b128 v195, v[170:173] offset:10240
	ds_store_b128 v195, v[148:151] offset:16640
	ds_store_b128 v195, v[162:165] offset:3840
	ds_store_b128 v195, v[156:159] offset:35840
.LBB0_11:
	s_or_b32 exec_lo, exec_lo, s1
	v_add_co_u32 v174, s1, 0x9000, v196
	s_delay_alu instid0(VALU_DEP_1) | instskip(SKIP_1) | instid1(VALU_DEP_1)
	v_add_co_ci_u32_e64 v175, s1, 0, v197, s1
	v_add_co_u32 v162, s1, 0xb000, v196
	v_add_co_ci_u32_e64 v163, s1, 0, v197, s1
	v_add_co_u32 v166, s1, 0xe000, v196
	s_delay_alu instid0(VALU_DEP_1) | instskip(SKIP_1) | instid1(VALU_DEP_1)
	v_add_co_ci_u32_e64 v167, s1, 0, v197, s1
	v_add_co_u32 v170, s1, 0x10000, v196
	v_add_co_ci_u32_e64 v171, s1, 0, v197, s1
	;; [unrolled: 5-line block ×3, first 2 shown]
	v_add_co_u32 v186, s1, 0xf000, v196
	s_delay_alu instid0(VALU_DEP_1)
	v_add_co_ci_u32_e64 v187, s1, 0, v197, s1
	v_add_co_u32 v190, s1, 0x11000, v196
	s_waitcnt lgkmcnt(0)
	s_barrier
	buffer_gl0_inv
	s_clause 0x4
	global_load_b128 v[162:165], v[162:163], off offset:2944
	global_load_b128 v[166:169], v[166:167], off offset:256
	;; [unrolled: 1-line block ×5, first 2 shown]
	v_add_co_ci_u32_e64 v191, s1, 0, v197, s1
	s_clause 0x2
	global_load_b128 v[182:185], v[182:183], off offset:2688
	global_load_b128 v[186:189], v[186:187], off
	global_load_b128 v[204:207], v[190:191], off offset:1408
	ds_load_b128 v[208:211], v195
	ds_load_b128 v[212:215], v195 offset:9600
	ds_load_b128 v[216:219], v195 offset:19200
	ds_load_b128 v[220:223], v195 offset:28800
	ds_load_b128 v[224:227], v195 offset:3840
	ds_load_b128 v[228:231], v195 offset:13440
	ds_load_b128 v[232:235], v195 offset:23040
	ds_load_b128 v[236:239], v195 offset:32640
	s_waitcnt vmcnt(7) lgkmcnt(6)
	v_mul_f64 v[240:241], v[214:215], v[164:165]
	v_mul_f64 v[164:165], v[212:213], v[164:165]
	s_waitcnt vmcnt(6) lgkmcnt(5)
	v_mul_f64 v[242:243], v[218:219], v[168:169]
	s_waitcnt vmcnt(4)
	v_mul_f64 v[190:191], v[210:211], v[176:177]
	v_mul_f64 v[176:177], v[208:209], v[176:177]
	s_waitcnt vmcnt(3) lgkmcnt(3)
	v_mul_f64 v[248:249], v[226:227], v[180:181]
	v_mul_f64 v[180:181], v[224:225], v[180:181]
	s_waitcnt vmcnt(2) lgkmcnt(2)
	v_mul_f64 v[250:251], v[230:231], v[184:185]
	v_mul_f64 v[184:185], v[228:229], v[184:185]
	;; [unrolled: 1-line block ×3, first 2 shown]
	s_waitcnt vmcnt(1) lgkmcnt(1)
	v_mul_f64 v[252:253], v[234:235], v[188:189]
	v_mul_f64 v[254:255], v[232:233], v[188:189]
	;; [unrolled: 1-line block ×4, first 2 shown]
	s_waitcnt vmcnt(0) lgkmcnt(0)
	v_mul_f64 v[193:194], v[238:239], v[206:207]
	v_mul_f64 v[198:199], v[236:237], v[206:207]
	v_fma_f64 v[188:189], v[212:213], v[162:163], -v[240:241]
	v_fma_f64 v[172:173], v[208:209], v[174:175], -v[190:191]
	v_fma_f64 v[174:175], v[210:211], v[174:175], v[176:177]
	v_fma_f64 v[176:177], v[224:225], v[178:179], -v[248:249]
	v_fma_f64 v[178:179], v[226:227], v[178:179], v[180:181]
	v_fma_f64 v[190:191], v[214:215], v[162:163], v[164:165]
	v_fma_f64 v[180:181], v[228:229], v[182:183], -v[250:251]
	v_fma_f64 v[182:183], v[230:231], v[182:183], v[184:185]
	v_fma_f64 v[162:163], v[216:217], v[166:167], -v[242:243]
	;; [unrolled: 2-line block ×5, first 2 shown]
	v_fma_f64 v[208:209], v[238:239], v[204:205], v[198:199]
	ds_store_b128 v195, v[172:175]
	ds_store_b128 v195, v[176:179] offset:3840
	ds_store_b128 v195, v[188:191] offset:9600
	;; [unrolled: 1-line block ×7, first 2 shown]
	s_and_saveexec_b32 s2, vcc_lo
	s_cbranch_execz .LBB0_13
; %bb.12:
	v_add_co_u32 v162, s1, 0x1000, v160
	s_delay_alu instid0(VALU_DEP_1) | instskip(SKIP_1) | instid1(VALU_DEP_1)
	v_add_co_ci_u32_e64 v163, s1, 0, v161, s1
	v_add_co_u32 v166, s1, 0x4000, v160
	v_add_co_ci_u32_e64 v167, s1, 0, v161, s1
	v_add_co_u32 v170, s1, 0x6000, v160
	s_delay_alu instid0(VALU_DEP_1) | instskip(SKIP_1) | instid1(VALU_DEP_1)
	v_add_co_ci_u32_e64 v171, s1, 0, v161, s1
	v_add_co_u32 v160, s1, 0x8000, v160
	v_add_co_ci_u32_e64 v161, s1, 0, v161, s1
	s_clause 0x3
	global_load_b128 v[162:165], v[162:163], off offset:3584
	global_load_b128 v[166:169], v[166:167], off offset:896
	;; [unrolled: 1-line block ×4, first 2 shown]
	ds_load_b128 v[178:181], v195 offset:7680
	ds_load_b128 v[182:185], v195 offset:17280
	;; [unrolled: 1-line block ×4, first 2 shown]
	s_waitcnt vmcnt(2) lgkmcnt(2)
	v_mul_f64 v[190:191], v[184:185], v[168:169]
	v_mul_f64 v[160:161], v[180:181], v[164:165]
	;; [unrolled: 1-line block ×4, first 2 shown]
	s_waitcnt vmcnt(1) lgkmcnt(1)
	v_mul_f64 v[193:194], v[188:189], v[172:173]
	v_mul_f64 v[172:173], v[186:187], v[172:173]
	s_waitcnt vmcnt(0) lgkmcnt(0)
	v_mul_f64 v[198:199], v[206:207], v[176:177]
	v_mul_f64 v[176:177], v[204:205], v[176:177]
	v_fma_f64 v[160:161], v[178:179], v[162:163], -v[160:161]
	v_fma_f64 v[162:163], v[180:181], v[162:163], v[164:165]
	v_fma_f64 v[164:165], v[182:183], v[166:167], -v[190:191]
	v_fma_f64 v[166:167], v[184:185], v[166:167], v[168:169]
	;; [unrolled: 2-line block ×4, first 2 shown]
	ds_store_b128 v195, v[164:167] offset:17280
	ds_store_b128 v195, v[168:171] offset:26880
	;; [unrolled: 1-line block ×4, first 2 shown]
.LBB0_13:
	s_or_b32 exec_lo, exec_lo, s2
	s_waitcnt lgkmcnt(0)
	s_barrier
	buffer_gl0_inv
	ds_load_b128 v[160:163], v195
	ds_load_b128 v[164:167], v195 offset:3840
	ds_load_b128 v[172:175], v195 offset:9600
	ds_load_b128 v[168:171], v195 offset:13440
	ds_load_b128 v[188:191], v195 offset:19200
	ds_load_b128 v[180:183], v195 offset:23040
	ds_load_b128 v[184:187], v195 offset:28800
	ds_load_b128 v[176:179], v195 offset:32640
	s_and_saveexec_b32 s1, vcc_lo
	s_cbranch_execz .LBB0_15
; %bb.14:
	ds_load_b128 v[144:147], v195 offset:17280
	ds_load_b128 v[152:155], v195 offset:26880
	;; [unrolled: 1-line block ×4, first 2 shown]
.LBB0_15:
	s_or_b32 exec_lo, exec_lo, s1
	s_waitcnt lgkmcnt(3)
	v_add_f64 v[188:189], v[160:161], -v[188:189]
	v_add_f64 v[190:191], v[162:163], -v[190:191]
	s_waitcnt lgkmcnt(1)
	v_add_f64 v[184:185], v[172:173], -v[184:185]
	v_add_f64 v[186:187], v[174:175], -v[186:187]
	;; [unrolled: 1-line block ×4, first 2 shown]
	s_waitcnt lgkmcnt(0)
	v_add_f64 v[176:177], v[168:169], -v[176:177]
	v_add_f64 v[178:179], v[170:171], -v[178:179]
	v_add_f64 v[152:153], v[148:149], -v[152:153]
	v_add_f64 v[212:213], v[144:145], -v[156:157]
	v_add_f64 v[158:159], v[146:147], -v[158:159]
	s_barrier
	buffer_gl0_inv
	v_fma_f64 v[204:205], v[160:161], 2.0, -v[188:189]
	v_add_f64 v[160:161], v[150:151], -v[154:155]
	v_fma_f64 v[206:207], v[162:163], 2.0, -v[190:191]
	v_fma_f64 v[172:173], v[172:173], 2.0, -v[184:185]
	v_fma_f64 v[174:175], v[174:175], 2.0, -v[186:187]
	v_fma_f64 v[208:209], v[164:165], 2.0, -v[193:194]
	v_fma_f64 v[210:211], v[166:167], 2.0, -v[198:199]
	v_fma_f64 v[180:181], v[168:169], 2.0, -v[176:177]
	v_fma_f64 v[182:183], v[170:171], 2.0, -v[178:179]
	v_fma_f64 v[154:155], v[148:149], 2.0, -v[152:153]
	v_fma_f64 v[144:145], v[144:145], 2.0, -v[212:213]
	v_fma_f64 v[146:147], v[146:147], 2.0, -v[158:159]
	v_add_f64 v[162:163], v[188:189], v[186:187]
	v_add_f64 v[164:165], v[190:191], -v[184:185]
	v_add_f64 v[168:169], v[198:199], -v[176:177]
	v_add_f64 v[166:167], v[193:194], v[178:179]
	v_add_f64 v[148:149], v[152:153], v[158:159]
	v_fma_f64 v[156:157], v[150:151], 2.0, -v[160:161]
	v_add_f64 v[150:151], v[160:161], -v[212:213]
	v_add_f64 v[170:171], v[204:205], -v[172:173]
	;; [unrolled: 1-line block ×6, first 2 shown]
	v_fma_f64 v[178:179], v[188:189], 2.0, -v[162:163]
	v_fma_f64 v[180:181], v[190:191], 2.0, -v[164:165]
	;; [unrolled: 1-line block ×4, first 2 shown]
	v_add_f64 v[146:147], v[156:157], -v[146:147]
	v_fma_f64 v[186:187], v[204:205], 2.0, -v[170:171]
	v_fma_f64 v[188:189], v[206:207], 2.0, -v[172:173]
	;; [unrolled: 1-line block ×4, first 2 shown]
	ds_store_b128 v200, v[170:173] offset:32
	ds_store_b128 v200, v[162:165] offset:48
	ds_store_b128 v200, v[186:189]
	ds_store_b128 v200, v[178:181] offset:16
	ds_store_b128 v201, v[204:207]
	ds_store_b128 v201, v[182:185] offset:16
	ds_store_b128 v201, v[174:177] offset:32
	;; [unrolled: 1-line block ×3, first 2 shown]
	s_and_saveexec_b32 s1, vcc_lo
	s_cbranch_execz .LBB0_17
; %bb.16:
	v_fma_f64 v[162:163], v[156:157], 2.0, -v[146:147]
	v_fma_f64 v[156:157], v[152:153], 2.0, -v[148:149]
	scratch_load_b32 v152, off, off offset:16 ; 4-byte Folded Reload
	v_fma_f64 v[158:159], v[160:161], 2.0, -v[150:151]
	v_fma_f64 v[160:161], v[154:155], 2.0, -v[144:145]
	s_waitcnt vmcnt(0)
	ds_store_b128 v152, v[160:163]
	ds_store_b128 v152, v[156:159] offset:16
	ds_store_b128 v152, v[144:147] offset:32
	;; [unrolled: 1-line block ×3, first 2 shown]
.LBB0_17:
	s_or_b32 exec_lo, exec_lo, s1
	s_waitcnt lgkmcnt(0)
	s_barrier
	buffer_gl0_inv
	ds_load_b128 v[152:155], v195 offset:11520
	ds_load_b128 v[156:159], v195 offset:19200
	;; [unrolled: 1-line block ×9, first 2 shown]
	s_mov_b32 s12, 0x134454ff
	s_mov_b32 s13, 0xbfee6f0e
	;; [unrolled: 1-line block ×12, first 2 shown]
	s_waitcnt lgkmcnt(8)
	v_mul_f64 v[188:189], v[54:55], v[152:153]
	s_waitcnt lgkmcnt(7)
	v_mul_f64 v[190:191], v[62:63], v[156:157]
	;; [unrolled: 2-line block ×4, first 2 shown]
	v_mul_f64 v[54:55], v[54:55], v[154:155]
	v_mul_f64 v[62:63], v[62:63], v[158:159]
	s_waitcnt lgkmcnt(1)
	v_mul_f64 v[200:201], v[34:35], v[180:181]
	v_mul_f64 v[58:59], v[58:59], v[162:163]
	;; [unrolled: 1-line block ×4, first 2 shown]
	s_mov_b32 s23, 0xbfe9e377
	s_mov_b32 s22, s18
	v_fma_f64 v[154:155], v[52:53], v[154:155], -v[188:189]
	v_fma_f64 v[158:159], v[60:61], v[158:159], -v[190:191]
	;; [unrolled: 1-line block ×4, first 2 shown]
	s_waitcnt lgkmcnt(0)
	v_mul_f64 v[188:189], v[50:51], v[186:187]
	v_mul_f64 v[50:51], v[50:51], v[184:185]
	;; [unrolled: 1-line block ×8, first 2 shown]
	v_fma_f64 v[52:53], v[52:53], v[152:153], v[54:55]
	v_fma_f64 v[54:55], v[60:61], v[156:157], v[62:63]
	;; [unrolled: 1-line block ×4, first 2 shown]
	v_fma_f64 v[60:61], v[32:33], v[182:183], -v[200:201]
	v_add_f64 v[182:183], v[158:159], -v[154:155]
	v_add_f64 v[62:63], v[158:159], v[162:163]
	v_add_f64 v[64:65], v[154:155], v[166:167]
	v_fma_f64 v[66:67], v[48:49], v[184:185], v[188:189]
	v_fma_f64 v[48:49], v[48:49], v[186:187], -v[50:51]
	v_fma_f64 v[50:51], v[44:45], v[168:169], v[190:191]
	v_fma_f64 v[44:45], v[44:45], v[170:171], -v[46:47]
	v_fma_f64 v[46:47], v[40:41], v[172:173], v[193:194]
	v_fma_f64 v[152:153], v[36:37], v[176:177], v[198:199]
	v_fma_f64 v[40:41], v[40:41], v[174:175], -v[42:43]
	v_fma_f64 v[36:37], v[36:37], v[178:179], -v[38:39]
	v_fma_f64 v[38:39], v[32:33], v[180:181], v[34:35]
	v_add_f64 v[176:177], v[154:155], -v[166:167]
	v_add_f64 v[42:43], v[54:55], v[56:57]
	v_add_f64 v[156:157], v[52:53], v[58:59]
	v_add_f64 v[160:161], v[52:53], -v[58:59]
	v_add_f64 v[164:165], v[54:55], -v[56:57]
	;; [unrolled: 1-line block ×6, first 2 shown]
	ds_load_b128 v[32:35], v195
	v_add_f64 v[206:207], v[52:53], -v[54:55]
	v_add_f64 v[208:209], v[58:59], -v[56:57]
	;; [unrolled: 1-line block ×3, first 2 shown]
	s_waitcnt lgkmcnt(0)
	s_barrier
	buffer_gl0_inv
	v_fma_f64 v[62:63], v[62:63], -0.5, v[60:61]
	v_fma_f64 v[64:65], v[64:65], -0.5, v[60:61]
	v_add_f64 v[193:194], v[32:33], v[66:67]
	v_add_f64 v[204:205], v[34:35], v[48:49]
	;; [unrolled: 1-line block ×3, first 2 shown]
	v_add_f64 v[212:213], v[48:49], -v[44:45]
	v_add_f64 v[168:169], v[50:51], v[46:47]
	v_add_f64 v[170:171], v[66:67], v[152:153]
	;; [unrolled: 1-line block ×4, first 2 shown]
	v_add_f64 v[198:199], v[48:49], -v[36:37]
	v_add_f64 v[200:201], v[44:45], -v[40:41]
	v_fma_f64 v[42:43], v[42:43], -0.5, v[38:39]
	v_fma_f64 v[156:157], v[156:157], -0.5, v[38:39]
	v_add_f64 v[38:39], v[38:39], v[52:53]
	v_add_f64 v[52:53], v[54:55], -v[52:53]
	v_add_f64 v[48:49], v[44:45], -v[48:49]
	;; [unrolled: 1-line block ×4, first 2 shown]
	v_fma_f64 v[188:189], v[160:161], s[2:3], v[62:63]
	v_fma_f64 v[190:191], v[164:165], s[12:13], v[64:65]
	;; [unrolled: 1-line block ×4, first 2 shown]
	v_add_f64 v[44:45], v[204:205], v[44:45]
	v_add_f64 v[60:61], v[60:61], v[158:159]
	v_fma_f64 v[154:155], v[168:169], -0.5, v[32:33]
	v_add_f64 v[168:169], v[66:67], -v[152:153]
	v_fma_f64 v[32:33], v[170:171], -0.5, v[32:33]
	v_add_f64 v[170:171], v[50:51], -v[46:47]
	v_fma_f64 v[172:173], v[172:173], -0.5, v[34:35]
	v_fma_f64 v[34:35], v[174:175], -0.5, v[34:35]
	v_add_f64 v[174:175], v[178:179], v[180:181]
	v_add_f64 v[178:179], v[182:183], v[184:185]
	v_fma_f64 v[180:181], v[176:177], s[12:13], v[42:43]
	v_fma_f64 v[42:43], v[176:177], s[2:3], v[42:43]
	;; [unrolled: 1-line block ×4, first 2 shown]
	v_add_f64 v[38:39], v[38:39], v[54:55]
	v_add_f64 v[54:55], v[206:207], v[208:209]
	;; [unrolled: 1-line block ×4, first 2 shown]
	v_fma_f64 v[184:185], v[164:165], s[10:11], v[188:189]
	v_fma_f64 v[188:189], v[160:161], s[10:11], v[190:191]
	;; [unrolled: 1-line block ×4, first 2 shown]
	v_add_f64 v[160:161], v[66:67], -v[50:51]
	v_add_f64 v[66:67], v[50:51], -v[66:67]
	v_add_f64 v[50:51], v[193:194], v[50:51]
	v_add_f64 v[164:165], v[152:153], -v[46:47]
	v_fma_f64 v[158:159], v[198:199], s[12:13], v[154:155]
	v_fma_f64 v[154:155], v[198:199], s[2:3], v[154:155]
	v_fma_f64 v[204:205], v[168:169], s[2:3], v[172:173]
	v_fma_f64 v[206:207], v[170:171], s[12:13], v[34:35]
	v_fma_f64 v[34:35], v[170:171], s[2:3], v[34:35]
	v_add_f64 v[190:191], v[46:47], -v[152:153]
	v_fma_f64 v[180:181], v[186:187], s[16:17], v[180:181]
	v_fma_f64 v[42:43], v[186:187], s[10:11], v[42:43]
	;; [unrolled: 1-line block ×7, first 2 shown]
	v_add_f64 v[40:41], v[44:45], v[40:41]
	v_add_f64 v[38:39], v[38:39], v[56:57]
	v_add_f64 v[44:45], v[60:61], v[162:163]
	v_fma_f64 v[176:177], v[174:175], s[14:15], v[184:185]
	v_fma_f64 v[184:185], v[178:179], s[14:15], v[188:189]
	;; [unrolled: 1-line block ×4, first 2 shown]
	v_add_f64 v[46:47], v[50:51], v[46:47]
	v_add_f64 v[160:161], v[160:161], v[164:165]
	;; [unrolled: 1-line block ×3, first 2 shown]
	v_fma_f64 v[50:51], v[200:201], s[16:17], v[158:159]
	v_fma_f64 v[56:57], v[200:201], s[10:11], v[154:155]
	;; [unrolled: 1-line block ×9, first 2 shown]
	v_add_f64 v[66:67], v[66:67], v[190:191]
	v_fma_f64 v[60:61], v[198:199], s[16:17], v[193:194]
	v_fma_f64 v[158:159], v[170:171], s[16:17], v[172:173]
	;; [unrolled: 1-line block ×3, first 2 shown]
	v_add_f64 v[40:41], v[40:41], v[36:37]
	v_add_f64 v[36:37], v[38:39], v[58:59]
	;; [unrolled: 1-line block ×3, first 2 shown]
	v_mul_f64 v[156:157], v[176:177], s[16:17]
	v_mul_f64 v[176:177], v[176:177], s[18:19]
	;; [unrolled: 1-line block ×8, first 2 shown]
	v_add_f64 v[46:47], v[46:47], v[152:153]
	v_fma_f64 v[58:59], v[160:161], s[14:15], v[50:51]
	v_fma_f64 v[152:153], v[160:161], s[14:15], v[56:57]
	;; [unrolled: 1-line block ×8, first 2 shown]
	v_add_f64 v[34:35], v[40:41], v[38:39]
	v_add_f64 v[38:39], v[40:41], -v[38:39]
	v_fma_f64 v[56:57], v[168:169], s[18:19], v[156:157]
	v_fma_f64 v[168:169], v[168:169], s[10:11], v[176:177]
	v_fma_f64 v[156:157], v[54:55], s[14:15], v[170:171]
	v_fma_f64 v[170:171], v[54:55], s[2:3], v[178:179]
	v_fma_f64 v[164:165], v[52:53], s[20:21], v[172:173]
	v_fma_f64 v[172:173], v[52:53], s[2:3], v[64:65]
	v_fma_f64 v[166:167], v[42:43], s[22:23], v[174:175]
	v_fma_f64 v[174:175], v[42:43], s[10:11], v[62:63]
	v_add_f64 v[32:33], v[46:47], v[36:37]
	v_add_f64 v[36:37], v[46:47], -v[36:37]
	v_add_f64 v[40:41], v[58:59], v[56:57]
	v_add_f64 v[42:43], v[154:155], v[168:169]
	;; [unrolled: 1-line block ×8, first 2 shown]
	v_add_f64 v[56:57], v[58:59], -v[56:57]
	v_add_f64 v[58:59], v[154:155], -v[168:169]
	;; [unrolled: 1-line block ×8, first 2 shown]
	ds_store_b128 v203, v[32:35]
	ds_store_b128 v203, v[40:43] offset:64
	ds_store_b128 v203, v[44:47] offset:128
	ds_store_b128 v203, v[48:51] offset:192
	ds_store_b128 v203, v[52:55] offset:256
	ds_store_b128 v203, v[36:39] offset:320
	ds_store_b128 v203, v[56:59] offset:384
	ds_store_b128 v203, v[60:63] offset:448
	ds_store_b128 v203, v[64:67] offset:512
	ds_store_b128 v203, v[152:155] offset:576
	s_waitcnt lgkmcnt(0)
	s_barrier
	buffer_gl0_inv
	ds_load_b128 v[32:35], v195 offset:11520
	ds_load_b128 v[36:39], v195 offset:19200
	;; [unrolled: 1-line block ×9, first 2 shown]
	s_waitcnt lgkmcnt(8)
	v_mul_f64 v[152:153], v[90:91], v[32:33]
	s_waitcnt lgkmcnt(7)
	v_mul_f64 v[154:155], v[102:103], v[36:37]
	;; [unrolled: 2-line block ×4, first 2 shown]
	v_mul_f64 v[90:91], v[90:91], v[34:35]
	v_mul_f64 v[102:103], v[102:103], v[38:39]
	s_waitcnt lgkmcnt(1)
	v_mul_f64 v[160:161], v[70:71], v[60:61]
	v_mul_f64 v[98:99], v[98:99], v[42:43]
	;; [unrolled: 1-line block ×4, first 2 shown]
	v_fma_f64 v[152:153], v[88:89], v[34:35], -v[152:153]
	v_fma_f64 v[38:39], v[100:101], v[38:39], -v[154:155]
	;; [unrolled: 1-line block ×4, first 2 shown]
	s_waitcnt lgkmcnt(0)
	v_mul_f64 v[34:35], v[86:87], v[66:67]
	v_mul_f64 v[86:87], v[86:87], v[64:65]
	;; [unrolled: 1-line block ×8, first 2 shown]
	v_fma_f64 v[88:89], v[88:89], v[32:33], v[90:91]
	v_fma_f64 v[36:37], v[100:101], v[36:37], v[102:103]
	;; [unrolled: 1-line block ×4, first 2 shown]
	v_fma_f64 v[62:63], v[68:69], v[62:63], -v[160:161]
	v_fma_f64 v[60:61], v[68:69], v[60:61], v[70:71]
	v_add_f64 v[96:97], v[152:153], -v[38:39]
	v_add_f64 v[32:33], v[38:39], v[42:43]
	v_add_f64 v[90:91], v[152:153], v[46:47]
	v_fma_f64 v[64:65], v[84:85], v[64:65], v[34:35]
	v_fma_f64 v[66:67], v[84:85], v[66:67], -v[86:87]
	v_fma_f64 v[48:49], v[80:81], v[48:49], v[154:155]
	v_fma_f64 v[50:51], v[80:81], v[50:51], -v[82:83]
	v_fma_f64 v[52:53], v[76:77], v[52:53], v[156:157]
	v_fma_f64 v[56:57], v[72:73], v[56:57], v[158:159]
	v_fma_f64 v[54:55], v[76:77], v[54:55], -v[78:79]
	v_fma_f64 v[58:59], v[72:73], v[58:59], -v[74:75]
	v_add_f64 v[98:99], v[46:47], -v[42:43]
	v_add_f64 v[100:101], v[38:39], -v[152:153]
	v_add_f64 v[68:69], v[36:37], v[40:41]
	v_add_f64 v[70:71], v[88:89], v[44:45]
	v_add_f64 v[72:73], v[88:89], -v[44:45]
	v_add_f64 v[74:75], v[36:37], -v[40:41]
	v_add_f64 v[102:103], v[42:43], -v[46:47]
	v_add_f64 v[120:121], v[38:39], -v[42:43]
	v_add_f64 v[164:165], v[88:89], -v[36:37]
	v_add_f64 v[166:167], v[44:45], -v[40:41]
	v_add_f64 v[168:169], v[40:41], -v[44:45]
	v_fma_f64 v[76:77], v[32:33], -0.5, v[62:63]
	v_fma_f64 v[78:79], v[90:91], -0.5, v[62:63]
	v_add_f64 v[90:91], v[152:153], -v[46:47]
	ds_load_b128 v[32:35], v195
	v_add_f64 v[62:63], v[62:63], v[152:153]
	v_add_f64 v[170:171], v[66:67], -v[50:51]
	v_add_f64 v[80:81], v[48:49], v[52:53]
	v_add_f64 v[82:83], v[64:65], v[56:57]
	;; [unrolled: 1-line block ×4, first 2 shown]
	v_add_f64 v[158:159], v[66:67], -v[58:59]
	v_add_f64 v[160:161], v[50:51], -v[54:55]
	v_fma_f64 v[68:69], v[68:69], -0.5, v[60:61]
	v_fma_f64 v[70:71], v[70:71], -0.5, v[60:61]
	v_add_f64 v[60:61], v[60:61], v[88:89]
	v_add_f64 v[152:153], v[64:65], -v[56:57]
	v_add_f64 v[88:89], v[36:37], -v[88:89]
	;; [unrolled: 1-line block ×4, first 2 shown]
	s_waitcnt lgkmcnt(0)
	s_barrier
	buffer_gl0_inv
	v_add_f64 v[156:157], v[32:33], v[64:65]
	v_add_f64 v[162:163], v[34:35], v[66:67]
	v_add_f64 v[66:67], v[50:51], -v[66:67]
	v_fma_f64 v[122:123], v[72:73], s[2:3], v[76:77]
	v_fma_f64 v[154:155], v[74:75], s[12:13], v[78:79]
	;; [unrolled: 1-line block ×4, first 2 shown]
	v_add_f64 v[38:39], v[62:63], v[38:39]
	v_fma_f64 v[80:81], v[80:81], -0.5, v[32:33]
	v_fma_f64 v[32:33], v[82:83], -0.5, v[32:33]
	;; [unrolled: 1-line block ×4, first 2 shown]
	v_add_f64 v[86:87], v[96:97], v[98:99]
	v_add_f64 v[96:97], v[100:101], v[102:103]
	v_fma_f64 v[98:99], v[90:91], s[12:13], v[68:69]
	v_fma_f64 v[100:101], v[120:121], s[2:3], v[70:71]
	v_fma_f64 v[70:71], v[120:121], s[12:13], v[70:71]
	v_add_f64 v[82:83], v[48:49], -v[52:53]
	v_fma_f64 v[68:69], v[90:91], s[2:3], v[68:69]
	v_add_f64 v[36:37], v[60:61], v[36:37]
	v_add_f64 v[60:61], v[164:165], v[166:167]
	;; [unrolled: 1-line block ×5, first 2 shown]
	v_fma_f64 v[102:103], v[74:75], s[10:11], v[122:123]
	v_fma_f64 v[122:123], v[72:73], s[10:11], v[154:155]
	;; [unrolled: 1-line block ×4, first 2 shown]
	v_add_f64 v[76:77], v[64:65], -v[48:49]
	v_add_f64 v[64:65], v[48:49], -v[64:65]
	v_add_f64 v[48:49], v[156:157], v[48:49]
	v_add_f64 v[78:79], v[56:57], -v[52:53]
	v_add_f64 v[154:155], v[52:53], -v[56:57]
	v_fma_f64 v[62:63], v[158:159], s[12:13], v[80:81]
	v_fma_f64 v[80:81], v[158:159], s[2:3], v[80:81]
	;; [unrolled: 1-line block ×12, first 2 shown]
	v_add_f64 v[36:37], v[36:37], v[40:41]
	v_add_f64 v[38:39], v[38:39], v[42:43]
	v_add_f64 v[50:51], v[50:51], v[54:55]
	v_fma_f64 v[90:91], v[86:87], s[14:15], v[102:103]
	v_fma_f64 v[102:103], v[96:97], s[14:15], v[122:123]
	;; [unrolled: 1-line block ×4, first 2 shown]
	v_add_f64 v[48:49], v[48:49], v[52:53]
	v_add_f64 v[76:77], v[76:77], v[78:79]
	;; [unrolled: 1-line block ×4, first 2 shown]
	v_fma_f64 v[40:41], v[160:161], s[16:17], v[62:63]
	v_fma_f64 v[42:43], v[160:161], s[10:11], v[80:81]
	;; [unrolled: 1-line block ×12, first 2 shown]
	v_add_f64 v[36:37], v[36:37], v[44:45]
	v_add_f64 v[38:39], v[38:39], v[46:47]
	v_add_f64 v[58:59], v[50:51], v[58:59]
	v_mul_f64 v[84:85], v[90:91], s[16:17]
	v_mul_f64 v[90:91], v[90:91], s[18:19]
	v_mul_f64 v[86:87], v[102:103], s[12:13]
	v_mul_f64 v[88:89], v[72:73], s[12:13]
	v_mul_f64 v[98:99], v[102:103], s[14:15]
	v_mul_f64 v[72:73], v[72:73], s[20:21]
	v_mul_f64 v[96:97], v[74:75], s[16:17]
	v_mul_f64 v[74:75], v[74:75], s[22:23]
	v_add_f64 v[56:57], v[48:49], v[56:57]
	v_fma_f64 v[40:41], v[76:77], s[14:15], v[40:41]
	v_fma_f64 v[42:43], v[76:77], s[14:15], v[42:43]
	;; [unrolled: 1-line block ×8, first 2 shown]
	v_add_f64 v[50:51], v[58:59], v[38:39]
	v_add_f64 v[54:55], v[58:59], -v[38:39]
	v_fma_f64 v[32:33], v[82:83], s[18:19], v[84:85]
	v_fma_f64 v[82:83], v[82:83], s[10:11], v[90:91]
	;; [unrolled: 1-line block ×8, first 2 shown]
	v_add_f64 v[48:49], v[56:57], v[36:37]
	v_add_f64 v[52:53], v[56:57], -v[36:37]
	v_add_f64 v[56:57], v[40:41], v[32:33]
	v_add_f64 v[58:59], v[76:77], v[82:83]
	;; [unrolled: 1-line block ×8, first 2 shown]
	v_add_f64 v[32:33], v[40:41], -v[32:33]
	v_add_f64 v[36:37], v[44:45], -v[34:35]
	;; [unrolled: 1-line block ×8, first 2 shown]
	ds_store_b128 v202, v[48:51]
	ds_store_b128 v202, v[56:59] offset:640
	ds_store_b128 v202, v[60:63] offset:1280
	;; [unrolled: 1-line block ×9, first 2 shown]
	s_waitcnt lgkmcnt(0)
	s_barrier
	buffer_gl0_inv
	ds_load_b128 v[48:51], v195
	ds_load_b128 v[52:55], v195 offset:6400
	ds_load_b128 v[56:59], v195 offset:12800
	;; [unrolled: 1-line block ×5, first 2 shown]
	s_and_saveexec_b32 s1, s0
	s_cbranch_execz .LBB0_19
; %bb.18:
	ds_load_b128 v[36:39], v195 offset:10240
	ds_load_b128 v[40:43], v195 offset:16640
	;; [unrolled: 1-line block ×6, first 2 shown]
.LBB0_19:
	s_or_b32 exec_lo, exec_lo, s1
	s_waitcnt lgkmcnt(2)
	v_mul_f64 v[72:73], v[126:127], v[64:65]
	s_waitcnt lgkmcnt(0)
	v_mul_f64 v[74:75], v[130:131], v[68:69]
	v_mul_f64 v[76:77], v[134:135], v[52:53]
	;; [unrolled: 1-line block ×7, first 2 shown]
	s_mov_b32 s10, 0xe8584caa
	s_mov_b32 s11, 0xbfebb67a
	;; [unrolled: 1-line block ×4, first 2 shown]
	v_fma_f64 v[66:67], v[124:125], v[66:67], -v[72:73]
	v_fma_f64 v[70:71], v[128:129], v[70:71], -v[74:75]
	v_mul_f64 v[72:73], v[134:135], v[54:55]
	v_mul_f64 v[74:75], v[142:143], v[58:59]
	v_fma_f64 v[64:65], v[124:125], v[64:65], v[78:79]
	v_fma_f64 v[68:69], v[128:129], v[68:69], v[80:81]
	v_fma_f64 v[54:55], v[132:133], v[54:55], -v[76:77]
	v_fma_f64 v[58:59], v[140:141], v[58:59], -v[82:83]
	v_fma_f64 v[60:61], v[136:137], v[60:61], v[84:85]
	v_fma_f64 v[62:63], v[136:137], v[62:63], -v[86:87]
	v_add_f64 v[76:77], v[66:67], v[70:71]
	v_fma_f64 v[52:53], v[132:133], v[52:53], v[72:73]
	v_fma_f64 v[56:57], v[140:141], v[56:57], v[74:75]
	v_add_f64 v[82:83], v[66:67], -v[70:71]
	v_add_f64 v[72:73], v[64:65], v[68:69]
	v_add_f64 v[74:75], v[64:65], -v[68:69]
	v_add_f64 v[80:81], v[58:59], v[62:63]
	;; [unrolled: 2-line block ×3, first 2 shown]
	v_fma_f64 v[76:77], v[76:77], -0.5, v[54:55]
	v_add_f64 v[54:55], v[54:55], v[66:67]
	v_add_f64 v[78:79], v[56:57], v[60:61]
	v_fma_f64 v[72:73], v[72:73], -0.5, v[52:53]
	v_add_f64 v[52:53], v[52:53], v[64:65]
	v_fma_f64 v[50:51], v[80:81], -0.5, v[50:51]
	v_add_f64 v[58:59], v[58:59], v[62:63]
	v_fma_f64 v[84:85], v[74:75], s[2:3], v[76:77]
	v_fma_f64 v[74:75], v[74:75], s[10:11], v[76:77]
	v_add_f64 v[76:77], v[48:49], v[56:57]
	v_add_f64 v[56:57], v[56:57], -v[60:61]
	v_fma_f64 v[48:49], v[78:79], -0.5, v[48:49]
	v_fma_f64 v[64:65], v[82:83], s[10:11], v[72:73]
	v_fma_f64 v[66:67], v[82:83], s[2:3], v[72:73]
	v_add_f64 v[52:53], v[52:53], v[68:69]
	v_add_f64 v[54:55], v[54:55], v[70:71]
	v_mul_f64 v[72:73], v[84:85], s[10:11]
	v_mul_f64 v[80:81], v[84:85], 0.5
	v_mul_f64 v[78:79], v[74:75], s[10:11]
	v_mul_f64 v[74:75], v[74:75], -0.5
	v_add_f64 v[60:61], v[76:77], v[60:61]
	v_fma_f64 v[68:69], v[86:87], s[10:11], v[48:49]
	v_fma_f64 v[76:77], v[56:57], s[2:3], v[50:51]
	;; [unrolled: 1-line block ×4, first 2 shown]
	v_add_f64 v[50:51], v[58:59], v[54:55]
	v_add_f64 v[54:55], v[58:59], -v[54:55]
	v_fma_f64 v[72:73], v[64:65], 0.5, v[72:73]
	v_fma_f64 v[80:81], v[64:65], s[2:3], v[80:81]
	v_fma_f64 v[78:79], v[66:67], -0.5, v[78:79]
	v_fma_f64 v[74:75], v[66:67], s[2:3], v[74:75]
	v_add_f64 v[48:49], v[60:61], v[52:53]
	v_add_f64 v[52:53], v[60:61], -v[52:53]
	v_add_f64 v[56:57], v[68:69], v[72:73]
	v_add_f64 v[58:59], v[76:77], v[80:81]
	;; [unrolled: 1-line block ×4, first 2 shown]
	v_add_f64 v[64:65], v[68:69], -v[72:73]
	v_add_f64 v[66:67], v[76:77], -v[80:81]
	;; [unrolled: 1-line block ×4, first 2 shown]
	ds_store_b128 v195, v[48:51]
	ds_store_b128 v195, v[56:59] offset:6400
	ds_store_b128 v195, v[60:63] offset:12800
	ds_store_b128 v195, v[52:55] offset:19200
	ds_store_b128 v195, v[64:67] offset:25600
	ds_store_b128 v195, v[68:71] offset:32000
	s_and_saveexec_b32 s1, s0
	s_cbranch_execz .LBB0_21
; %bb.20:
	v_mul_f64 v[48:49], v[94:95], v[44:45]
	v_mul_f64 v[50:51], v[118:119], v[148:149]
	;; [unrolled: 1-line block ×9, first 2 shown]
	v_fma_f64 v[46:47], v[92:93], v[46:47], -v[48:49]
	v_fma_f64 v[48:49], v[116:117], v[150:151], -v[50:51]
	v_mul_f64 v[50:51], v[114:115], v[40:41]
	v_fma_f64 v[44:45], v[92:93], v[44:45], v[52:53]
	v_fma_f64 v[52:53], v[116:117], v[148:149], v[54:55]
	v_fma_f64 v[38:39], v[104:105], v[38:39], -v[56:57]
	v_fma_f64 v[40:41], v[112:113], v[40:41], v[60:61]
	v_fma_f64 v[56:57], v[108:109], v[144:145], v[62:63]
	;; [unrolled: 1-line block ×3, first 2 shown]
	v_add_f64 v[54:55], v[48:49], v[46:47]
	v_fma_f64 v[42:43], v[112:113], v[42:43], -v[50:51]
	v_fma_f64 v[50:51], v[108:109], v[146:147], -v[58:59]
	v_add_f64 v[58:59], v[52:53], v[44:45]
	v_add_f64 v[60:61], v[44:45], -v[52:53]
	v_add_f64 v[64:65], v[46:47], -v[48:49]
	v_add_f64 v[66:67], v[40:41], v[56:57]
	v_fma_f64 v[54:55], v[54:55], -0.5, v[38:39]
	v_add_f64 v[70:71], v[42:43], v[34:35]
	v_add_f64 v[62:63], v[42:43], v[50:51]
	v_fma_f64 v[58:59], v[58:59], -0.5, v[36:37]
	v_add_f64 v[38:39], v[38:39], v[46:47]
	v_add_f64 v[42:43], v[42:43], -v[50:51]
	v_add_f64 v[36:37], v[36:37], v[44:45]
	v_fma_f64 v[68:69], v[60:61], s[10:11], v[54:55]
	v_fma_f64 v[54:55], v[60:61], s[2:3], v[54:55]
	v_add_f64 v[60:61], v[40:41], -v[56:57]
	v_add_f64 v[40:41], v[40:41], v[32:33]
	v_fma_f64 v[34:35], v[62:63], -0.5, v[34:35]
	v_fma_f64 v[32:33], v[66:67], -0.5, v[32:33]
	v_fma_f64 v[46:47], v[64:65], s[10:11], v[58:59]
	v_fma_f64 v[44:45], v[64:65], s[2:3], v[58:59]
	v_add_f64 v[38:39], v[48:49], v[38:39]
	v_add_f64 v[36:37], v[52:53], v[36:37]
	;; [unrolled: 1-line block ×3, first 2 shown]
	v_mul_f64 v[58:59], v[68:69], -0.5
	v_mul_f64 v[62:63], v[54:55], 0.5
	v_mul_f64 v[54:55], v[54:55], s[10:11]
	v_mul_f64 v[64:65], v[68:69], s[10:11]
	v_fma_f64 v[52:53], v[60:61], s[10:11], v[34:35]
	v_fma_f64 v[48:49], v[60:61], s[2:3], v[34:35]
	;; [unrolled: 1-line block ×3, first 2 shown]
	v_add_f64 v[40:41], v[56:57], v[40:41]
	v_fma_f64 v[56:57], v[42:43], s[2:3], v[32:33]
	v_add_f64 v[34:35], v[50:51], -v[38:39]
	v_add_f64 v[38:39], v[50:51], v[38:39]
	v_fma_f64 v[58:59], v[44:45], s[2:3], v[58:59]
	v_fma_f64 v[62:63], v[46:47], s[2:3], v[62:63]
	v_fma_f64 v[54:55], v[46:47], 0.5, v[54:55]
	v_fma_f64 v[64:65], v[44:45], -0.5, v[64:65]
	v_add_f64 v[32:33], v[40:41], -v[36:37]
	v_add_f64 v[36:37], v[40:41], v[36:37]
	v_add_f64 v[42:43], v[52:53], v[58:59]
	;; [unrolled: 1-line block ×5, first 2 shown]
	v_add_f64 v[50:51], v[48:49], -v[62:63]
	v_add_f64 v[48:49], v[60:61], -v[54:55]
	v_add_f64 v[54:55], v[52:53], -v[58:59]
	v_add_f64 v[52:53], v[56:57], -v[64:65]
	ds_store_b128 v195, v[44:47] offset:10240
	ds_store_b128 v195, v[40:43] offset:16640
	;; [unrolled: 1-line block ×6, first 2 shown]
.LBB0_21:
	s_or_b32 exec_lo, exec_lo, s1
	s_waitcnt lgkmcnt(0)
	s_barrier
	buffer_gl0_inv
	ds_load_b128 v[32:35], v195
	ds_load_b128 v[36:39], v195 offset:9600
	ds_load_b128 v[40:43], v195 offset:19200
	;; [unrolled: 1-line block ×7, first 2 shown]
	scratch_load_b64 v[80:81], off, off     ; 8-byte Folded Reload
	v_mad_u64_u32 v[82:83], null, s4, v192, 0
	s_mul_i32 s1, s5, 0x258
	s_mov_b32 s2, 0xb4e81b4f
	s_mov_b32 s3, 0x3f3b4e81
	s_mul_hi_u32 s11, s4, 0xfffff9e8
	s_mul_i32 s10, s4, 0xfffff9e8
	s_waitcnt lgkmcnt(7)
	v_mul_f64 v[64:65], v[2:3], v[34:35]
	v_mul_f64 v[2:3], v[2:3], v[32:33]
	s_waitcnt lgkmcnt(6)
	v_mul_f64 v[66:67], v[22:23], v[38:39]
	v_mul_f64 v[22:23], v[22:23], v[36:37]
	;; [unrolled: 3-line block ×8, first 2 shown]
	v_fma_f64 v[32:33], v[0:1], v[32:33], v[64:65]
	v_fma_f64 v[0:1], v[0:1], v[34:35], -v[2:3]
	v_fma_f64 v[34:35], v[20:21], v[36:37], v[66:67]
	v_fma_f64 v[20:21], v[20:21], v[38:39], -v[22:23]
	;; [unrolled: 2-line block ×8, first 2 shown]
	v_mul_f64 v[6:7], v[34:35], s[2:3]
	v_mul_f64 v[8:9], v[20:21], s[2:3]
	;; [unrolled: 1-line block ×13, first 2 shown]
	s_waitcnt vmcnt(0)
	v_mov_b32_e32 v86, v80
	s_delay_alu instid0(VALU_DEP_1) | instskip(SKIP_1) | instid1(VALU_DEP_1)
	v_mad_u64_u32 v[80:81], null, s6, v86, 0
	s_mul_i32 s6, s4, 0x258
	v_mad_u64_u32 v[84:85], null, s7, v86, v[81:82]
	v_mov_b32_e32 v81, v83
	s_mul_hi_u32 s7, s4, 0x258
	s_delay_alu instid0(SALU_CYCLE_1) | instskip(SKIP_1) | instid1(VALU_DEP_1)
	s_add_i32 s7, s7, s1
	s_sub_i32 s1, s11, s4
	v_mad_u64_u32 v[85:86], null, s5, v192, v[81:82]
	s_delay_alu instid0(VALU_DEP_3) | instskip(SKIP_2) | instid1(SALU_CYCLE_1)
	v_mov_b32_e32 v81, v84
	s_lshl_b64 s[6:7], s[6:7], 4
	s_mulk_i32 s5, 0xf9e8
	s_add_i32 s11, s1, s5
	s_delay_alu instid0(VALU_DEP_1) | instskip(NEXT) | instid1(VALU_DEP_3)
	v_lshlrev_b64 v[2:3], 4, v[80:81]
	v_mov_b32_e32 v83, v85
	s_lshl_b64 s[4:5], s[10:11], 4
	s_delay_alu instid0(VALU_DEP_1) | instskip(NEXT) | instid1(VALU_DEP_3)
	v_lshlrev_b64 v[4:5], 4, v[82:83]
	v_add_co_u32 v2, s0, s8, v2
	s_delay_alu instid0(VALU_DEP_1) | instskip(NEXT) | instid1(VALU_DEP_2)
	v_add_co_ci_u32_e64 v3, s0, s9, v3, s0
	v_add_co_u32 v50, s0, v2, v4
	s_delay_alu instid0(VALU_DEP_1) | instskip(SKIP_2) | instid1(VALU_DEP_4)
	v_add_co_ci_u32_e64 v51, s0, v3, v5, s0
	v_mul_f64 v[2:3], v[32:33], s[2:3]
	v_mul_f64 v[4:5], v[0:1], s[2:3]
	v_add_co_u32 v52, s0, v50, s6
	s_delay_alu instid0(VALU_DEP_1) | instskip(SKIP_1) | instid1(VALU_DEP_3)
	v_add_co_ci_u32_e64 v53, s0, s7, v51, s0
	v_mul_f64 v[32:33], v[48:49], s[2:3]
	v_add_co_u32 v34, s0, v52, s6
	s_delay_alu instid0(VALU_DEP_1) | instskip(NEXT) | instid1(VALU_DEP_2)
	v_add_co_ci_u32_e64 v35, s0, s7, v53, s0
	v_add_co_u32 v36, s0, v34, s6
	s_delay_alu instid0(VALU_DEP_1) | instskip(NEXT) | instid1(VALU_DEP_2)
	v_add_co_ci_u32_e64 v37, s0, s7, v35, s0
	;; [unrolled: 3-line block ×5, first 2 shown]
	v_add_co_u32 v0, s0, v42, s6
	s_delay_alu instid0(VALU_DEP_1)
	v_add_co_ci_u32_e64 v1, s0, s7, v43, s0
	s_clause 0x4
	global_store_b128 v[50:51], v[2:5], off
	global_store_b128 v[52:53], v[6:9], off
	global_store_b128 v[34:35], v[10:13], off
	global_store_b128 v[36:37], v[14:17], off
	global_store_b128 v[38:39], v[18:21], off
	global_store_b128 v[40:41], v[22:25], off
	global_store_b128 v[42:43], v[26:29], off
	global_store_b128 v[0:1], v[30:33], off
	s_and_b32 exec_lo, exec_lo, vcc_lo
	s_cbranch_execz .LBB0_23
; %bb.22:
	scratch_load_b64 v[6:7], off, off offset:8 ; 8-byte Folded Reload
	v_add_co_u32 v2, vcc_lo, 0x1000, v196
	v_add_co_ci_u32_e32 v3, vcc_lo, 0, v197, vcc_lo
	v_add_co_u32 v10, vcc_lo, 0x6000, v196
	v_add_co_ci_u32_e32 v11, vcc_lo, 0, v197, vcc_lo
	v_add_co_u32 v14, vcc_lo, 0x8000, v196
	global_load_b128 v[2:5], v[2:3], off offset:3584
	v_add_co_ci_u32_e32 v15, vcc_lo, 0, v197, vcc_lo
	v_add_co_u32 v0, vcc_lo, v0, s4
	v_add_co_ci_u32_e32 v1, vcc_lo, s5, v1, vcc_lo
	s_waitcnt vmcnt(1)
	s_clause 0x2
	global_load_b128 v[6:9], v[6:7], off offset:896
	global_load_b128 v[10:13], v[10:11], off offset:2304
	;; [unrolled: 1-line block ×3, first 2 shown]
	ds_load_b128 v[18:21], v195 offset:7680
	ds_load_b128 v[22:25], v195 offset:17280
	;; [unrolled: 1-line block ×4, first 2 shown]
	s_waitcnt vmcnt(3) lgkmcnt(3)
	v_mul_f64 v[34:35], v[20:21], v[4:5]
	v_mul_f64 v[4:5], v[18:19], v[4:5]
	s_delay_alu instid0(VALU_DEP_2) | instskip(NEXT) | instid1(VALU_DEP_2)
	v_fma_f64 v[18:19], v[18:19], v[2:3], v[34:35]
	v_fma_f64 v[4:5], v[2:3], v[20:21], -v[4:5]
	s_delay_alu instid0(VALU_DEP_2) | instskip(NEXT) | instid1(VALU_DEP_2)
	v_mul_f64 v[2:3], v[18:19], s[2:3]
	v_mul_f64 v[4:5], v[4:5], s[2:3]
	v_add_co_u32 v18, vcc_lo, v0, s6
	v_add_co_ci_u32_e32 v19, vcc_lo, s7, v1, vcc_lo
	s_waitcnt vmcnt(2) lgkmcnt(2)
	v_mul_f64 v[36:37], v[24:25], v[8:9]
	v_mul_f64 v[8:9], v[22:23], v[8:9]
	s_waitcnt vmcnt(1) lgkmcnt(1)
	v_mul_f64 v[38:39], v[28:29], v[12:13]
	v_mul_f64 v[12:13], v[26:27], v[12:13]
	;; [unrolled: 3-line block ×3, first 2 shown]
	v_fma_f64 v[20:21], v[22:23], v[6:7], v[36:37]
	v_fma_f64 v[8:9], v[6:7], v[24:25], -v[8:9]
	v_fma_f64 v[22:23], v[26:27], v[10:11], v[38:39]
	v_fma_f64 v[12:13], v[10:11], v[28:29], -v[12:13]
	;; [unrolled: 2-line block ×3, first 2 shown]
	v_mul_f64 v[6:7], v[20:21], s[2:3]
	v_mul_f64 v[8:9], v[8:9], s[2:3]
	v_mul_f64 v[10:11], v[22:23], s[2:3]
	v_mul_f64 v[12:13], v[12:13], s[2:3]
	v_mul_f64 v[14:15], v[24:25], s[2:3]
	v_mul_f64 v[16:17], v[16:17], s[2:3]
	v_add_co_u32 v20, vcc_lo, v18, s6
	v_add_co_ci_u32_e32 v21, vcc_lo, s7, v19, vcc_lo
	s_delay_alu instid0(VALU_DEP_2) | instskip(NEXT) | instid1(VALU_DEP_2)
	v_add_co_u32 v22, vcc_lo, v20, s6
	v_add_co_ci_u32_e32 v23, vcc_lo, s7, v21, vcc_lo
	global_store_b128 v[0:1], v[2:5], off
	global_store_b128 v[18:19], v[6:9], off
	;; [unrolled: 1-line block ×4, first 2 shown]
.LBB0_23:
	s_nop 0
	s_sendmsg sendmsg(MSG_DEALLOC_VGPRS)
	s_endpgm
	.section	.rodata,"a",@progbits
	.p2align	6, 0x0
	.amdhsa_kernel bluestein_single_fwd_len2400_dim1_dp_op_CI_CI
		.amdhsa_group_segment_fixed_size 38400
		.amdhsa_private_segment_fixed_size 24
		.amdhsa_kernarg_size 104
		.amdhsa_user_sgpr_count 15
		.amdhsa_user_sgpr_dispatch_ptr 0
		.amdhsa_user_sgpr_queue_ptr 0
		.amdhsa_user_sgpr_kernarg_segment_ptr 1
		.amdhsa_user_sgpr_dispatch_id 0
		.amdhsa_user_sgpr_private_segment_size 0
		.amdhsa_wavefront_size32 1
		.amdhsa_uses_dynamic_stack 0
		.amdhsa_enable_private_segment 1
		.amdhsa_system_sgpr_workgroup_id_x 1
		.amdhsa_system_sgpr_workgroup_id_y 0
		.amdhsa_system_sgpr_workgroup_id_z 0
		.amdhsa_system_sgpr_workgroup_info 0
		.amdhsa_system_vgpr_workitem_id 0
		.amdhsa_next_free_vgpr 256
		.amdhsa_next_free_sgpr 24
		.amdhsa_reserve_vcc 1
		.amdhsa_float_round_mode_32 0
		.amdhsa_float_round_mode_16_64 0
		.amdhsa_float_denorm_mode_32 3
		.amdhsa_float_denorm_mode_16_64 3
		.amdhsa_dx10_clamp 1
		.amdhsa_ieee_mode 1
		.amdhsa_fp16_overflow 0
		.amdhsa_workgroup_processor_mode 1
		.amdhsa_memory_ordered 1
		.amdhsa_forward_progress 0
		.amdhsa_shared_vgpr_count 0
		.amdhsa_exception_fp_ieee_invalid_op 0
		.amdhsa_exception_fp_denorm_src 0
		.amdhsa_exception_fp_ieee_div_zero 0
		.amdhsa_exception_fp_ieee_overflow 0
		.amdhsa_exception_fp_ieee_underflow 0
		.amdhsa_exception_fp_ieee_inexact 0
		.amdhsa_exception_int_div_zero 0
	.end_amdhsa_kernel
	.text
.Lfunc_end0:
	.size	bluestein_single_fwd_len2400_dim1_dp_op_CI_CI, .Lfunc_end0-bluestein_single_fwd_len2400_dim1_dp_op_CI_CI
                                        ; -- End function
	.section	.AMDGPU.csdata,"",@progbits
; Kernel info:
; codeLenInByte = 15460
; NumSgprs: 26
; NumVgprs: 256
; ScratchSize: 24
; MemoryBound: 0
; FloatMode: 240
; IeeeMode: 1
; LDSByteSize: 38400 bytes/workgroup (compile time only)
; SGPRBlocks: 3
; VGPRBlocks: 31
; NumSGPRsForWavesPerEU: 26
; NumVGPRsForWavesPerEU: 256
; Occupancy: 5
; WaveLimiterHint : 1
; COMPUTE_PGM_RSRC2:SCRATCH_EN: 1
; COMPUTE_PGM_RSRC2:USER_SGPR: 15
; COMPUTE_PGM_RSRC2:TRAP_HANDLER: 0
; COMPUTE_PGM_RSRC2:TGID_X_EN: 1
; COMPUTE_PGM_RSRC2:TGID_Y_EN: 0
; COMPUTE_PGM_RSRC2:TGID_Z_EN: 0
; COMPUTE_PGM_RSRC2:TIDIG_COMP_CNT: 0
	.text
	.p2alignl 7, 3214868480
	.fill 96, 4, 3214868480
	.type	__hip_cuid_687279967cf10bdc,@object ; @__hip_cuid_687279967cf10bdc
	.section	.bss,"aw",@nobits
	.globl	__hip_cuid_687279967cf10bdc
__hip_cuid_687279967cf10bdc:
	.byte	0                               ; 0x0
	.size	__hip_cuid_687279967cf10bdc, 1

	.ident	"AMD clang version 19.0.0git (https://github.com/RadeonOpenCompute/llvm-project roc-6.4.0 25133 c7fe45cf4b819c5991fe208aaa96edf142730f1d)"
	.section	".note.GNU-stack","",@progbits
	.addrsig
	.addrsig_sym __hip_cuid_687279967cf10bdc
	.amdgpu_metadata
---
amdhsa.kernels:
  - .args:
      - .actual_access:  read_only
        .address_space:  global
        .offset:         0
        .size:           8
        .value_kind:     global_buffer
      - .actual_access:  read_only
        .address_space:  global
        .offset:         8
        .size:           8
        .value_kind:     global_buffer
      - .actual_access:  read_only
        .address_space:  global
        .offset:         16
        .size:           8
        .value_kind:     global_buffer
      - .actual_access:  read_only
        .address_space:  global
        .offset:         24
        .size:           8
        .value_kind:     global_buffer
      - .actual_access:  read_only
        .address_space:  global
        .offset:         32
        .size:           8
        .value_kind:     global_buffer
      - .offset:         40
        .size:           8
        .value_kind:     by_value
      - .address_space:  global
        .offset:         48
        .size:           8
        .value_kind:     global_buffer
      - .address_space:  global
        .offset:         56
        .size:           8
        .value_kind:     global_buffer
      - .address_space:  global
        .offset:         64
        .size:           8
        .value_kind:     global_buffer
      - .address_space:  global
        .offset:         72
        .size:           8
        .value_kind:     global_buffer
      - .offset:         80
        .size:           4
        .value_kind:     by_value
      - .address_space:  global
        .offset:         88
        .size:           8
        .value_kind:     global_buffer
      - .address_space:  global
        .offset:         96
        .size:           8
        .value_kind:     global_buffer
    .group_segment_fixed_size: 38400
    .kernarg_segment_align: 8
    .kernarg_segment_size: 104
    .language:       OpenCL C
    .language_version:
      - 2
      - 0
    .max_flat_workgroup_size: 240
    .name:           bluestein_single_fwd_len2400_dim1_dp_op_CI_CI
    .private_segment_fixed_size: 24
    .sgpr_count:     26
    .sgpr_spill_count: 0
    .symbol:         bluestein_single_fwd_len2400_dim1_dp_op_CI_CI.kd
    .uniform_work_group_size: 1
    .uses_dynamic_stack: false
    .vgpr_count:     256
    .vgpr_spill_count: 5
    .wavefront_size: 32
    .workgroup_processor_mode: 1
amdhsa.target:   amdgcn-amd-amdhsa--gfx1100
amdhsa.version:
  - 1
  - 2
...

	.end_amdgpu_metadata
